;; amdgpu-corpus repo=ROCm/rocFFT kind=compiled arch=gfx1030 opt=O3
	.text
	.amdgcn_target "amdgcn-amd-amdhsa--gfx1030"
	.amdhsa_code_object_version 6
	.protected	fft_rtc_back_len432_factors_3_16_3_3_wgs_54_tpt_27_halfLds_half_op_CI_CI_unitstride_sbrr_R2C_dirReg ; -- Begin function fft_rtc_back_len432_factors_3_16_3_3_wgs_54_tpt_27_halfLds_half_op_CI_CI_unitstride_sbrr_R2C_dirReg
	.globl	fft_rtc_back_len432_factors_3_16_3_3_wgs_54_tpt_27_halfLds_half_op_CI_CI_unitstride_sbrr_R2C_dirReg
	.p2align	8
	.type	fft_rtc_back_len432_factors_3_16_3_3_wgs_54_tpt_27_halfLds_half_op_CI_CI_unitstride_sbrr_R2C_dirReg,@function
fft_rtc_back_len432_factors_3_16_3_3_wgs_54_tpt_27_halfLds_half_op_CI_CI_unitstride_sbrr_R2C_dirReg: ; @fft_rtc_back_len432_factors_3_16_3_3_wgs_54_tpt_27_halfLds_half_op_CI_CI_unitstride_sbrr_R2C_dirReg
; %bb.0:
	s_clause 0x2
	s_load_dwordx4 s[12:15], s[4:5], 0x0
	s_load_dwordx4 s[8:11], s[4:5], 0x58
	;; [unrolled: 1-line block ×3, first 2 shown]
	v_mul_u32_u24_e32 v1, 0x97c, v0
	v_mov_b32_e32 v3, 0
	v_mov_b32_e32 v16, 0
	;; [unrolled: 1-line block ×3, first 2 shown]
	v_lshrrev_b32_e32 v9, 16, v1
	v_mov_b32_e32 v6, v3
	v_lshl_add_u32 v5, s6, 1, v9
	s_waitcnt lgkmcnt(0)
	v_cmp_lt_u64_e64 s0, s[14:15], 2
	s_and_b32 vcc_lo, exec_lo, s0
	s_cbranch_vccnz .LBB0_8
; %bb.1:
	s_load_dwordx2 s[0:1], s[4:5], 0x10
	v_mov_b32_e32 v16, 0
	v_mov_b32_e32 v17, 0
	s_add_u32 s2, s18, 8
	s_addc_u32 s3, s19, 0
	v_mov_b32_e32 v1, v16
	s_add_u32 s6, s16, 8
	v_mov_b32_e32 v2, v17
	s_addc_u32 s7, s17, 0
	s_mov_b64 s[22:23], 1
	s_waitcnt lgkmcnt(0)
	s_add_u32 s20, s0, 8
	s_addc_u32 s21, s1, 0
.LBB0_2:                                ; =>This Inner Loop Header: Depth=1
	s_load_dwordx2 s[24:25], s[20:21], 0x0
                                        ; implicit-def: $vgpr7_vgpr8
	s_mov_b32 s0, exec_lo
	s_waitcnt lgkmcnt(0)
	v_or_b32_e32 v4, s25, v6
	v_cmpx_ne_u64_e32 0, v[3:4]
	s_xor_b32 s1, exec_lo, s0
	s_cbranch_execz .LBB0_4
; %bb.3:                                ;   in Loop: Header=BB0_2 Depth=1
	v_cvt_f32_u32_e32 v4, s24
	v_cvt_f32_u32_e32 v7, s25
	s_sub_u32 s0, 0, s24
	s_subb_u32 s26, 0, s25
	v_fmac_f32_e32 v4, 0x4f800000, v7
	v_rcp_f32_e32 v4, v4
	v_mul_f32_e32 v4, 0x5f7ffffc, v4
	v_mul_f32_e32 v7, 0x2f800000, v4
	v_trunc_f32_e32 v7, v7
	v_fmac_f32_e32 v4, 0xcf800000, v7
	v_cvt_u32_f32_e32 v7, v7
	v_cvt_u32_f32_e32 v4, v4
	v_mul_lo_u32 v8, s0, v7
	v_mul_hi_u32 v10, s0, v4
	v_mul_lo_u32 v11, s26, v4
	v_add_nc_u32_e32 v8, v10, v8
	v_mul_lo_u32 v10, s0, v4
	v_add_nc_u32_e32 v8, v8, v11
	v_mul_hi_u32 v11, v4, v10
	v_mul_lo_u32 v12, v4, v8
	v_mul_hi_u32 v13, v4, v8
	v_mul_hi_u32 v14, v7, v10
	v_mul_lo_u32 v10, v7, v10
	v_mul_hi_u32 v15, v7, v8
	v_mul_lo_u32 v8, v7, v8
	v_add_co_u32 v11, vcc_lo, v11, v12
	v_add_co_ci_u32_e32 v12, vcc_lo, 0, v13, vcc_lo
	v_add_co_u32 v10, vcc_lo, v11, v10
	v_add_co_ci_u32_e32 v10, vcc_lo, v12, v14, vcc_lo
	v_add_co_ci_u32_e32 v11, vcc_lo, 0, v15, vcc_lo
	v_add_co_u32 v8, vcc_lo, v10, v8
	v_add_co_ci_u32_e32 v10, vcc_lo, 0, v11, vcc_lo
	v_add_co_u32 v4, vcc_lo, v4, v8
	v_add_co_ci_u32_e32 v7, vcc_lo, v7, v10, vcc_lo
	v_mul_hi_u32 v8, s0, v4
	v_mul_lo_u32 v11, s26, v4
	v_mul_lo_u32 v10, s0, v7
	v_add_nc_u32_e32 v8, v8, v10
	v_mul_lo_u32 v10, s0, v4
	v_add_nc_u32_e32 v8, v8, v11
	v_mul_hi_u32 v11, v4, v10
	v_mul_lo_u32 v12, v4, v8
	v_mul_hi_u32 v13, v4, v8
	v_mul_hi_u32 v14, v7, v10
	v_mul_lo_u32 v10, v7, v10
	v_mul_hi_u32 v15, v7, v8
	v_mul_lo_u32 v8, v7, v8
	v_add_co_u32 v11, vcc_lo, v11, v12
	v_add_co_ci_u32_e32 v12, vcc_lo, 0, v13, vcc_lo
	v_add_co_u32 v10, vcc_lo, v11, v10
	v_add_co_ci_u32_e32 v10, vcc_lo, v12, v14, vcc_lo
	v_add_co_ci_u32_e32 v11, vcc_lo, 0, v15, vcc_lo
	v_add_co_u32 v8, vcc_lo, v10, v8
	v_add_co_ci_u32_e32 v10, vcc_lo, 0, v11, vcc_lo
	v_add_co_u32 v4, vcc_lo, v4, v8
	v_add_co_ci_u32_e32 v12, vcc_lo, v7, v10, vcc_lo
	v_mul_hi_u32 v14, v5, v4
	v_mad_u64_u32 v[10:11], null, v6, v4, 0
	v_mad_u64_u32 v[7:8], null, v5, v12, 0
	v_mad_u64_u32 v[12:13], null, v6, v12, 0
	v_add_co_u32 v4, vcc_lo, v14, v7
	v_add_co_ci_u32_e32 v7, vcc_lo, 0, v8, vcc_lo
	v_add_co_u32 v4, vcc_lo, v4, v10
	v_add_co_ci_u32_e32 v4, vcc_lo, v7, v11, vcc_lo
	v_add_co_ci_u32_e32 v7, vcc_lo, 0, v13, vcc_lo
	v_add_co_u32 v4, vcc_lo, v4, v12
	v_add_co_ci_u32_e32 v10, vcc_lo, 0, v7, vcc_lo
	v_mul_lo_u32 v11, s25, v4
	v_mad_u64_u32 v[7:8], null, s24, v4, 0
	v_mul_lo_u32 v12, s24, v10
	v_sub_co_u32 v7, vcc_lo, v5, v7
	v_add3_u32 v8, v8, v12, v11
	v_sub_nc_u32_e32 v11, v6, v8
	v_subrev_co_ci_u32_e64 v11, s0, s25, v11, vcc_lo
	v_add_co_u32 v12, s0, v4, 2
	v_add_co_ci_u32_e64 v13, s0, 0, v10, s0
	v_sub_co_u32 v14, s0, v7, s24
	v_sub_co_ci_u32_e32 v8, vcc_lo, v6, v8, vcc_lo
	v_subrev_co_ci_u32_e64 v11, s0, 0, v11, s0
	v_cmp_le_u32_e32 vcc_lo, s24, v14
	v_cmp_eq_u32_e64 s0, s25, v8
	v_cndmask_b32_e64 v14, 0, -1, vcc_lo
	v_cmp_le_u32_e32 vcc_lo, s25, v11
	v_cndmask_b32_e64 v15, 0, -1, vcc_lo
	v_cmp_le_u32_e32 vcc_lo, s24, v7
	;; [unrolled: 2-line block ×3, first 2 shown]
	v_cndmask_b32_e64 v18, 0, -1, vcc_lo
	v_cmp_eq_u32_e32 vcc_lo, s25, v11
	v_cndmask_b32_e64 v7, v18, v7, s0
	v_cndmask_b32_e32 v11, v15, v14, vcc_lo
	v_add_co_u32 v14, vcc_lo, v4, 1
	v_add_co_ci_u32_e32 v15, vcc_lo, 0, v10, vcc_lo
	v_cmp_ne_u32_e32 vcc_lo, 0, v11
	v_cndmask_b32_e32 v8, v15, v13, vcc_lo
	v_cndmask_b32_e32 v11, v14, v12, vcc_lo
	v_cmp_ne_u32_e32 vcc_lo, 0, v7
	v_cndmask_b32_e32 v8, v10, v8, vcc_lo
	v_cndmask_b32_e32 v7, v4, v11, vcc_lo
.LBB0_4:                                ;   in Loop: Header=BB0_2 Depth=1
	s_andn2_saveexec_b32 s0, s1
	s_cbranch_execz .LBB0_6
; %bb.5:                                ;   in Loop: Header=BB0_2 Depth=1
	v_cvt_f32_u32_e32 v4, s24
	s_sub_i32 s1, 0, s24
	v_rcp_iflag_f32_e32 v4, v4
	v_mul_f32_e32 v4, 0x4f7ffffe, v4
	v_cvt_u32_f32_e32 v4, v4
	v_mul_lo_u32 v7, s1, v4
	v_mul_hi_u32 v7, v4, v7
	v_add_nc_u32_e32 v4, v4, v7
	v_mul_hi_u32 v4, v5, v4
	v_mul_lo_u32 v7, v4, s24
	v_add_nc_u32_e32 v8, 1, v4
	v_sub_nc_u32_e32 v7, v5, v7
	v_subrev_nc_u32_e32 v10, s24, v7
	v_cmp_le_u32_e32 vcc_lo, s24, v7
	v_cndmask_b32_e32 v7, v7, v10, vcc_lo
	v_cndmask_b32_e32 v4, v4, v8, vcc_lo
	v_cmp_le_u32_e32 vcc_lo, s24, v7
	v_add_nc_u32_e32 v8, 1, v4
	v_cndmask_b32_e32 v7, v4, v8, vcc_lo
	v_mov_b32_e32 v8, v3
.LBB0_6:                                ;   in Loop: Header=BB0_2 Depth=1
	s_or_b32 exec_lo, exec_lo, s0
	v_mul_lo_u32 v4, v8, s24
	v_mul_lo_u32 v12, v7, s25
	s_load_dwordx2 s[0:1], s[6:7], 0x0
	v_mad_u64_u32 v[10:11], null, v7, s24, 0
	s_load_dwordx2 s[24:25], s[2:3], 0x0
	s_add_u32 s22, s22, 1
	s_addc_u32 s23, s23, 0
	s_add_u32 s2, s2, 8
	s_addc_u32 s3, s3, 0
	s_add_u32 s6, s6, 8
	v_add3_u32 v4, v11, v12, v4
	v_sub_co_u32 v5, vcc_lo, v5, v10
	s_addc_u32 s7, s7, 0
	s_add_u32 s20, s20, 8
	v_sub_co_ci_u32_e32 v4, vcc_lo, v6, v4, vcc_lo
	s_addc_u32 s21, s21, 0
	s_waitcnt lgkmcnt(0)
	v_mul_lo_u32 v6, s0, v4
	v_mul_lo_u32 v10, s1, v5
	v_mad_u64_u32 v[16:17], null, s0, v5, v[16:17]
	v_mul_lo_u32 v4, s24, v4
	v_mul_lo_u32 v11, s25, v5
	v_mad_u64_u32 v[1:2], null, s24, v5, v[1:2]
	v_cmp_ge_u64_e64 s0, s[22:23], s[14:15]
	v_add3_u32 v17, v10, v17, v6
	v_add3_u32 v2, v11, v2, v4
	s_and_b32 vcc_lo, exec_lo, s0
	s_cbranch_vccnz .LBB0_9
; %bb.7:                                ;   in Loop: Header=BB0_2 Depth=1
	v_mov_b32_e32 v5, v7
	v_mov_b32_e32 v6, v8
	s_branch .LBB0_2
.LBB0_8:
	v_mov_b32_e32 v1, v16
	v_mov_b32_e32 v8, v6
	;; [unrolled: 1-line block ×4, first 2 shown]
.LBB0_9:
	s_load_dwordx2 s[0:1], s[4:5], 0x28
	v_and_b32_e32 v3, 1, v9
	v_mul_hi_u32 v4, 0x97b425f, v0
	s_lshl_b64 s[4:5], s[14:15], 3
                                        ; implicit-def: $vgpr5
                                        ; implicit-def: $vgpr15
                                        ; implicit-def: $vgpr13
                                        ; implicit-def: $vgpr11
                                        ; implicit-def: $vgpr9
	s_add_u32 s2, s18, s4
	s_addc_u32 s3, s19, s5
	s_waitcnt lgkmcnt(0)
	v_cmp_gt_u64_e32 vcc_lo, s[0:1], v[7:8]
	v_cmp_le_u64_e64 s1, s[0:1], v[7:8]
	v_cmp_eq_u32_e64 s0, 1, v3
                                        ; implicit-def: $vgpr3
	s_and_saveexec_b32 s6, s1
	s_xor_b32 s1, exec_lo, s6
; %bb.10:
	v_mul_u32_u24_e32 v3, 27, v4
                                        ; implicit-def: $vgpr4
                                        ; implicit-def: $vgpr16_vgpr17
	v_sub_nc_u32_e32 v3, v0, v3
                                        ; implicit-def: $vgpr0
	v_add_nc_u32_e32 v5, 27, v3
	v_add_nc_u32_e32 v15, 54, v3
	;; [unrolled: 1-line block ×5, first 2 shown]
; %bb.11:
	s_or_saveexec_b32 s1, s1
	v_cndmask_b32_e64 v6, 0, 0x1b1, s0
	v_lshlrev_b32_e32 v34, 2, v6
	s_xor_b32 exec_lo, exec_lo, s1
	s_cbranch_execz .LBB0_13
; %bb.12:
	s_add_u32 s4, s16, s4
	s_addc_u32 s5, s17, s5
	s_load_dwordx2 s[4:5], s[4:5], 0x0
	s_waitcnt lgkmcnt(0)
	v_mul_lo_u32 v3, s5, v7
	v_mul_lo_u32 v9, s4, v8
	v_mad_u64_u32 v[5:6], null, s4, v7, 0
	v_add3_u32 v6, v6, v9, v3
	v_mul_u32_u24_e32 v3, 27, v4
	v_lshlrev_b64 v[9:10], 2, v[16:17]
	v_lshlrev_b64 v[4:5], 2, v[5:6]
	v_sub_nc_u32_e32 v3, v0, v3
	v_lshlrev_b32_e32 v6, 2, v3
	v_add_co_u32 v0, s0, s8, v4
	v_add_co_ci_u32_e64 v4, s0, s9, v5, s0
	v_add_nc_u32_e32 v15, 54, v3
	v_add_co_u32 v0, s0, v0, v9
	v_add_co_ci_u32_e64 v5, s0, v4, v10, s0
	v_add_nc_u32_e32 v13, 0x51, v3
	v_add_co_u32 v4, s0, v0, v6
	v_add_co_ci_u32_e64 v5, s0, 0, v5, s0
	s_clause 0xf
	global_load_dword v0, v[4:5], off
	global_load_dword v10, v[4:5], off offset:108
	global_load_dword v12, v[4:5], off offset:216
	;; [unrolled: 1-line block ×15, first 2 shown]
	v_add_nc_u32_e32 v5, 27, v3
	v_add3_u32 v6, 0, v34, v6
	v_add_nc_u32_e32 v11, 0x6c, v3
	v_add_nc_u32_e32 v9, 0x87, v3
	;; [unrolled: 1-line block ×3, first 2 shown]
	s_waitcnt vmcnt(14)
	ds_write2_b32 v6, v0, v10 offset1:27
	s_waitcnt vmcnt(12)
	ds_write2_b32 v6, v12, v14 offset0:54 offset1:81
	s_waitcnt vmcnt(10)
	ds_write2_b32 v6, v16, v17 offset0:108 offset1:135
	;; [unrolled: 2-line block ×7, first 2 shown]
.LBB0_13:
	s_or_b32 exec_lo, exec_lo, s1
	v_lshlrev_b32_e32 v4, 2, v3
	v_add_nc_u32_e32 v0, 0, v34
	s_load_dwordx2 s[2:3], s[2:3], 0x0
	s_waitcnt lgkmcnt(0)
	s_barrier
	v_add_nc_u32_e32 v6, 0, v4
	buffer_gl0_inv
	v_add_nc_u32_e32 v32, v0, v4
	v_mad_i32_i24 v22, v5, 12, 0
	v_mad_i32_i24 v12, v15, 12, 0
	v_add_nc_u32_e32 v6, v6, v34
	v_mad_i32_i24 v10, v13, 12, 0
	v_mad_i32_i24 v14, v11, 12, 0
	v_add_nc_u32_e32 v33, v22, v34
	v_add_nc_u32_e32 v40, v12, v34
	ds_read2_b32 v[16:17], v6 offset0:135 offset1:144
	v_add_nc_u32_e32 v21, 0x400, v6
	ds_read2_b32 v[24:25], v6 offset0:81 offset1:108
	ds_read2_b32 v[26:27], v6 offset0:225 offset1:252
	;; [unrolled: 1-line block ×4, first 2 shown]
	ds_read_b32 v23, v6 offset:1692
	ds_read_b32 v18, v32
	ds_read2_b32 v[19:20], v21 offset0:23 offset1:32
	ds_read2_b32 v[35:36], v21 offset0:113 offset1:140
	v_lshl_add_u32 v43, v3, 3, v6
	v_add_nc_u32_e32 v41, v10, v34
	v_cmp_gt_u32_e64 s0, 9, v3
	ds_read2_b32 v[38:39], v21 offset0:59 offset1:86
	s_waitcnt lgkmcnt(0)
	s_barrier
	buffer_gl0_inv
	v_add_nc_u32_e32 v42, v14, v34
	v_pk_add_f16 v37, v25, v27
	v_pk_add_f16 v44, v24, v26
	;; [unrolled: 1-line block ×8, first 2 shown]
	v_pk_add_f16 v17, v17, v20 neg_lo:[0,1] neg_hi:[0,1]
	v_pk_add_f16 v47, v47, v20
	v_pk_add_f16 v20, v30, v38
	v_pk_add_f16 v30, v30, v38 neg_lo:[0,1] neg_hi:[0,1]
	v_pk_fma_f16 v18, v37, 0.5, v18 op_sel_hi:[1,0,1] neg_lo:[1,0,0] neg_hi:[1,0,0]
	v_pk_mul_f16 v17, 0x3aee, v17 op_sel_hi:[0,1]
	v_pk_add_f16 v49, v19, v23 neg_lo:[0,1] neg_hi:[0,1]
	v_pk_fma_f16 v48, v48, 0.5, v16 op_sel_hi:[1,0,1] neg_lo:[1,0,0] neg_hi:[1,0,0]
	v_pk_fma_f16 v20, v20, 0.5, v28 op_sel_hi:[1,0,1] neg_lo:[1,0,0] neg_hi:[1,0,0]
	v_pk_mul_f16 v28, 0x3aee, v30 op_sel_hi:[0,1]
	v_pk_add_f16 v30, v18, v17 op_sel:[0,1] op_sel_hi:[1,0] neg_lo:[0,1] neg_hi:[0,1]
	v_pk_add_f16 v17, v18, v17 op_sel:[0,1] op_sel_hi:[1,0]
	v_pk_add_f16 v46, v46, v38
	v_pk_fma_f16 v37, 0x3aee, v49, v48 op_sel:[0,0,1] op_sel_hi:[0,1,0] neg_lo:[0,1,0] neg_hi:[0,1,0]
	v_pk_fma_f16 v38, 0x3aee, v49, v48 op_sel:[0,0,1] op_sel_hi:[0,1,0]
	v_pk_add_f16 v48, v20, v28 op_sel:[0,1] op_sel_hi:[1,0] neg_lo:[0,1] neg_hi:[0,1]
	v_pk_add_f16 v20, v20, v28 op_sel:[0,1] op_sel_hi:[1,0]
	v_bfi_b32 v28, 0xffff, v30, v17
	v_pk_add_f16 v49, v31, v39
	v_pk_add_f16 v31, v31, v39 neg_lo:[0,1] neg_hi:[0,1]
	v_bfi_b32 v17, 0xffff, v17, v30
	v_bfi_b32 v30, 0xffff, v48, v20
	;; [unrolled: 1-line block ×3, first 2 shown]
	v_pk_fma_f16 v29, v49, 0.5, v29 op_sel_hi:[1,0,1] neg_lo:[1,0,0] neg_hi:[1,0,0]
	v_pk_mul_f16 v31, 0x3aee, v31 op_sel_hi:[0,1]
	ds_write2_b32 v43, v47, v28 offset1:1
	ds_write_b32 v43, v17 offset:8
	ds_write2_b32 v33, v46, v30 offset1:1
	ds_write_b32 v33, v20 offset:8
	v_pk_add_f16 v20, v26, v35
	v_pk_add_f16 v26, v26, v35 neg_lo:[0,1] neg_hi:[0,1]
	v_pk_add_f16 v28, v27, v36
	v_pk_add_f16 v27, v27, v36 neg_lo:[0,1] neg_hi:[0,1]
	v_pk_add_f16 v17, v29, v31 op_sel:[0,1] op_sel_hi:[1,0] neg_lo:[0,1] neg_hi:[0,1]
	v_pk_add_f16 v29, v29, v31 op_sel:[0,1] op_sel_hi:[1,0]
	v_pk_fma_f16 v20, v20, 0.5, v24 op_sel_hi:[1,0,1] neg_lo:[1,0,0] neg_hi:[1,0,0]
	v_pk_mul_f16 v24, 0x3aee, v26 op_sel_hi:[0,1]
	v_pk_fma_f16 v25, v28, 0.5, v25 op_sel_hi:[1,0,1] neg_lo:[1,0,0] neg_hi:[1,0,0]
	v_pk_mul_f16 v26, 0x3aee, v27 op_sel_hi:[0,1]
	v_pk_add_f16 v45, v45, v39
	v_bfi_b32 v27, 0xffff, v17, v29
	v_pk_add_f16 v28, v20, v24 op_sel:[0,1] op_sel_hi:[1,0] neg_lo:[0,1] neg_hi:[0,1]
	v_pk_add_f16 v20, v20, v24 op_sel:[0,1] op_sel_hi:[1,0]
	v_bfi_b32 v17, 0xffff, v29, v17
	v_pk_add_f16 v24, v25, v26 op_sel:[0,1] op_sel_hi:[1,0] neg_lo:[0,1] neg_hi:[0,1]
	v_pk_add_f16 v25, v25, v26 op_sel:[0,1] op_sel_hi:[1,0]
	v_pk_add_f16 v44, v44, v35
	v_lshrrev_b32_e32 v18, 16, v37
	ds_write2_b32 v40, v45, v27 offset1:1
	ds_write_b32 v40, v17 offset:8
	v_bfi_b32 v17, 0xffff, v28, v20
	v_bfi_b32 v20, 0xffff, v20, v28
	;; [unrolled: 1-line block ×4, first 2 shown]
	ds_write2_b32 v41, v44, v17 offset1:1
	ds_write_b32 v41, v20 offset:8
	ds_write2_b32 v42, v50, v26 offset1:1
	ds_write_b32 v42, v24 offset:8
	s_and_saveexec_b32 s1, s0
	s_cbranch_execz .LBB0_15
; %bb.14:
	v_mul_i32_i24_e32 v17, 12, v9
	v_pk_add_f16 v16, v16, v19
	v_perm_b32 v19, v38, v18, 0x5040100
	v_alignbit_b32 v20, v37, v38, 16
	v_add3_u32 v17, 0, v17, v34
	v_pk_add_f16 v16, v16, v23
	ds_write_b32 v17, v16
	ds_write2_b32 v17, v19, v20 offset0:1 offset1:2
.LBB0_15:
	s_or_b32 exec_lo, exec_lo, s1
	v_and_b32_e32 v16, 0xff, v3
	v_mov_b32_e32 v17, 15
	s_waitcnt lgkmcnt(0)
	s_barrier
	buffer_gl0_inv
	v_mul_lo_u16 v16, 0xab, v16
	v_lshlrev_b32_e32 v19, 3, v15
	v_lshlrev_b32_e32 v35, 3, v13
	v_lshrrev_b16 v31, 9, v16
	v_sub_nc_u32_e32 v12, v12, v19
	v_lshlrev_b32_e32 v19, 2, v9
	v_mul_lo_u16 v16, v31, 3
	v_add_nc_u32_e32 v12, v12, v34
	v_sub_nc_u16 v36, v3, v16
	v_mul_u32_u24_sdwa v16, v36, v17 dst_sel:DWORD dst_unused:UNUSED_PAD src0_sel:BYTE_0 src1_sel:DWORD
	v_lshlrev_b32_e32 v16, 2, v16
	s_clause 0x3
	global_load_dwordx4 v[23:26], v16, s[12:13]
	global_load_dwordx4 v[27:30], v16, s[12:13] offset:16
	global_load_dwordx4 v[39:42], v16, s[12:13] offset:32
	global_load_dwordx3 v[43:45], v16, s[12:13] offset:48
	v_lshlrev_b32_e32 v16, 3, v5
	v_sub_nc_u32_e32 v20, v22, v16
	v_lshlrev_b32_e32 v22, 3, v11
	ds_read2_b32 v[16:17], v6 offset0:162 offset1:189
	v_add_nc_u32_e32 v33, v20, v34
	v_sub_nc_u32_e32 v14, v14, v22
	v_sub_nc_u32_e32 v20, v10, v35
	v_add3_u32 v35, 0, v19, v34
	ds_read_b32 v22, v33
	v_add_nc_u32_e32 v10, v14, v34
	v_add_nc_u32_e32 v14, v20, v34
	ds_read_b32 v48, v12
	ds_read_b32 v49, v10
	ds_read_b32 v50, v35
	ds_read_b32 v51, v14
	ds_read2_b32 v[19:20], v6 offset0:216 offset1:243
	ds_read_b32 v52, v32
	ds_read2_b32 v[46:47], v21 offset0:14 offset1:41
	s_waitcnt lgkmcnt(8)
	v_lshrrev_b32_e32 v54, 16, v16
	v_lshrrev_b32_e32 v55, 16, v17
	s_waitcnt lgkmcnt(6)
	v_lshrrev_b32_e32 v56, 16, v48
	v_lshrrev_b32_e32 v53, 16, v22
	s_waitcnt lgkmcnt(5)
	v_lshrrev_b32_e32 v58, 16, v49
	s_waitcnt lgkmcnt(3)
	v_lshrrev_b32_e32 v60, 16, v51
	s_waitcnt vmcnt(3)
	v_mul_f16_sdwa v57, v23, v53 dst_sel:DWORD dst_unused:UNUSED_PAD src0_sel:WORD_1 src1_sel:DWORD
	v_mul_f16_sdwa v59, v23, v22 dst_sel:DWORD dst_unused:UNUSED_PAD src0_sel:WORD_1 src1_sel:DWORD
	;; [unrolled: 1-line block ×3, first 2 shown]
	s_waitcnt vmcnt(2)
	v_mul_f16_sdwa v62, v17, v29 dst_sel:DWORD dst_unused:UNUSED_PAD src0_sel:DWORD src1_sel:WORD_1
	v_fmac_f16_e32 v57, v23, v22
	v_mul_f16_sdwa v22, v24, v48 dst_sel:DWORD dst_unused:UNUSED_PAD src0_sel:WORD_1 src1_sel:DWORD
	v_fma_f16 v23, v23, v53, -v59
	v_mul_f16_sdwa v53, v25, v60 dst_sel:DWORD dst_unused:UNUSED_PAD src0_sel:WORD_1 src1_sel:DWORD
	v_fmac_f16_e32 v61, v24, v48
	v_mul_f16_sdwa v48, v25, v51 dst_sel:DWORD dst_unused:UNUSED_PAD src0_sel:WORD_1 src1_sel:DWORD
	v_fma_f16 v22, v24, v56, -v22
	v_mul_f16_sdwa v24, v58, v26 dst_sel:DWORD dst_unused:UNUSED_PAD src0_sel:DWORD src1_sel:WORD_1
	v_fmac_f16_e32 v53, v25, v51
	v_mul_f16_sdwa v51, v49, v26 dst_sel:DWORD dst_unused:UNUSED_PAD src0_sel:DWORD src1_sel:WORD_1
	v_fma_f16 v25, v25, v60, -v48
	v_lshrrev_b32_e32 v48, 16, v50
	v_fmac_f16_e32 v24, v49, v26
	v_mul_f16_sdwa v56, v55, v29 dst_sel:DWORD dst_unused:UNUSED_PAD src0_sel:DWORD src1_sel:WORD_1
	v_fma_f16 v26, v58, v26, -v51
	v_mul_f16_sdwa v51, v54, v28 dst_sel:DWORD dst_unused:UNUSED_PAD src0_sel:DWORD src1_sel:WORD_1
	s_waitcnt lgkmcnt(2)
	v_lshrrev_b32_e32 v49, 16, v19
	v_mul_f16_sdwa v58, v48, v27 dst_sel:DWORD dst_unused:UNUSED_PAD src0_sel:DWORD src1_sel:WORD_1
	v_mul_f16_sdwa v59, v50, v27 dst_sel:DWORD dst_unused:UNUSED_PAD src0_sel:DWORD src1_sel:WORD_1
	;; [unrolled: 1-line block ×3, first 2 shown]
	v_fmac_f16_e32 v51, v16, v28
	v_fmac_f16_e32 v56, v17, v29
	ds_read2_b32 v[16:17], v21 offset0:68 offset1:95
	v_fmac_f16_e32 v58, v50, v27
	v_fma_f16 v27, v48, v27, -v59
	v_mul_f16_sdwa v48, v19, v30 dst_sel:DWORD dst_unused:UNUSED_PAD src0_sel:DWORD src1_sel:WORD_1
	v_fma_f16 v28, v54, v28, -v60
	v_mul_f16_sdwa v50, v49, v30 dst_sel:DWORD dst_unused:UNUSED_PAD src0_sel:DWORD src1_sel:WORD_1
	v_lshrrev_b32_e32 v54, 16, v20
	v_fma_f16 v29, v55, v29, -v62
	v_fma_f16 v48, v49, v30, -v48
	s_waitcnt lgkmcnt(1)
	v_lshrrev_b32_e32 v49, 16, v46
	v_fmac_f16_e32 v50, v19, v30
	v_lshrrev_b32_e32 v30, 16, v47
	s_waitcnt vmcnt(1)
	v_mul_f16_sdwa v55, v54, v39 dst_sel:DWORD dst_unused:UNUSED_PAD src0_sel:DWORD src1_sel:WORD_1
	v_mul_f16_sdwa v19, v20, v39 dst_sel:DWORD dst_unused:UNUSED_PAD src0_sel:DWORD src1_sel:WORD_1
	;; [unrolled: 1-line block ×5, first 2 shown]
	v_fmac_f16_e32 v55, v20, v39
	v_fma_f16 v39, v54, v39, -v19
	ds_read2_b32 v[19:20], v21 offset0:122 offset1:149
	v_fmac_f16_e32 v59, v46, v40
	v_fmac_f16_e32 v60, v47, v41
	v_mul_f16_sdwa v46, v47, v41 dst_sel:DWORD dst_unused:UNUSED_PAD src0_sel:DWORD src1_sel:WORD_1
	s_waitcnt lgkmcnt(1)
	v_lshrrev_b32_e32 v47, 16, v16
	v_fma_f16 v40, v49, v40, -v62
	v_sub_f16_e32 v39, v23, v39
	s_waitcnt vmcnt(0) lgkmcnt(0)
	v_fma_f16 v30, v30, v41, -v46
	v_mul_f16_sdwa v46, v47, v42 dst_sel:DWORD dst_unused:UNUSED_PAD src0_sel:DWORD src1_sel:WORD_1
	v_mul_f16_sdwa v41, v16, v42 dst_sel:DWORD dst_unused:UNUSED_PAD src0_sel:DWORD src1_sel:WORD_1
	v_sub_f16_e32 v40, v22, v40
	v_fma_f16 v23, v23, 2.0, -v39
	v_sub_f16_e32 v30, v25, v30
	v_fmac_f16_e32 v46, v16, v42
	v_mov_b32_e32 v16, 48
	v_fma_f16 v41, v47, v42, -v41
	v_lshrrev_b32_e32 v42, 16, v17
	v_fma_f16 v22, v22, 2.0, -v40
	v_fma_f16 v25, v25, 2.0, -v30
	v_mul_u32_u24_sdwa v16, v31, v16 dst_sel:DWORD dst_unused:UNUSED_PAD src0_sel:WORD_0 src1_sel:DWORD
	v_lshrrev_b32_e32 v31, 16, v19
	v_lshrrev_b32_e32 v49, 16, v20
	v_mul_f16_sdwa v47, v42, v43 dst_sel:DWORD dst_unused:UNUSED_PAD src0_sel:DWORD src1_sel:WORD_1
	v_sub_f16_e32 v41, v26, v41
	v_or_b32_sdwa v16, v16, v36 dst_sel:DWORD dst_unused:UNUSED_PAD src0_sel:DWORD src1_sel:BYTE_0
	v_mul_f16_sdwa v36, v31, v44 dst_sel:DWORD dst_unused:UNUSED_PAD src0_sel:DWORD src1_sel:WORD_1
	v_mul_f16_sdwa v54, v49, v45 dst_sel:DWORD dst_unused:UNUSED_PAD src0_sel:DWORD src1_sel:WORD_1
	v_fmac_f16_e32 v47, v17, v43
	v_mul_f16_sdwa v17, v17, v43 dst_sel:DWORD dst_unused:UNUSED_PAD src0_sel:DWORD src1_sel:WORD_1
	v_fma_f16 v26, v26, 2.0, -v41
	v_fmac_f16_e32 v36, v19, v44
	v_fmac_f16_e32 v54, v20, v45
	v_mul_f16_sdwa v19, v19, v44 dst_sel:DWORD dst_unused:UNUSED_PAD src0_sel:DWORD src1_sel:WORD_1
	v_mul_f16_sdwa v20, v20, v45 dst_sel:DWORD dst_unused:UNUSED_PAD src0_sel:DWORD src1_sel:WORD_1
	v_fma_f16 v17, v42, v43, -v17
	v_sub_f16_e32 v43, v52, v50
	v_sub_f16_e32 v36, v51, v36
	v_fma_f16 v19, v31, v44, -v19
	v_lshrrev_b32_e32 v31, 16, v52
	v_fma_f16 v20, v49, v45, -v20
	v_sub_f16_e32 v45, v24, v46
	v_sub_f16_e32 v46, v61, v59
	;; [unrolled: 1-line block ×10, first 2 shown]
	v_fma_f16 v52, v52, 2.0, -v43
	v_fma_f16 v31, v31, 2.0, -v44
	;; [unrolled: 1-line block ×12, first 2 shown]
	v_add_f16_e32 v41, v43, v41
	v_sub_f16_e32 v45, v44, v45
	v_add_f16_e32 v19, v46, v19
	v_sub_f16_e32 v36, v40, v36
	v_add_f16_e32 v17, v48, v17
	v_add_f16_e32 v20, v49, v20
	v_sub_f16_e32 v47, v39, v47
	v_sub_f16_e32 v50, v30, v50
	;; [unrolled: 1-line block ×4, first 2 shown]
	v_fma_f16 v43, v43, 2.0, -v41
	v_sub_f16_e32 v51, v54, v51
	v_sub_f16_e32 v28, v22, v28
	v_fma_f16 v46, v46, 2.0, -v19
	v_sub_f16_e32 v57, v55, v57
	v_sub_f16_e32 v27, v23, v27
	v_fma_f16 v48, v48, 2.0, -v17
	v_sub_f16_e32 v56, v53, v56
	v_sub_f16_e32 v29, v25, v29
	v_fma_f16 v49, v49, 2.0, -v20
	v_fmamk_f16 v58, v19, 0x39a8, v41
	v_fmamk_f16 v59, v36, 0x39a8, v45
	;; [unrolled: 1-line block ×3, first 2 shown]
	v_fma_f16 v39, v39, 2.0, -v47
	v_fma_f16 v30, v30, 2.0, -v50
	v_fmamk_f16 v61, v50, 0x39a8, v47
	v_fma_f16 v44, v44, 2.0, -v45
	v_fma_f16 v40, v40, 2.0, -v36
	;; [unrolled: 1-line block ×7, first 2 shown]
	v_fmac_f16_e32 v58, 0x39a8, v36
	v_fmamk_f16 v62, v46, 0xb9a8, v43
	v_fmac_f16_e32 v59, 0xb9a8, v19
	v_add_f16_e32 v28, v24, v28
	v_sub_f16_e32 v51, v26, v51
	v_fmac_f16_e32 v60, 0x39a8, v50
	v_fmamk_f16 v50, v49, 0xb9a8, v48
	v_add_f16_e32 v29, v57, v29
	v_sub_f16_e32 v36, v27, v56
	v_fmac_f16_e32 v61, 0xb9a8, v20
	v_fmamk_f16 v20, v30, 0xb9a8, v39
	v_fma_f16 v52, v52, 2.0, -v24
	v_fma_f16 v31, v31, 2.0, -v26
	;; [unrolled: 1-line block ×3, first 2 shown]
	v_fmamk_f16 v19, v40, 0xb9a8, v44
	v_fmac_f16_e32 v62, 0x39a8, v40
	v_fma_f16 v24, v24, 2.0, -v28
	v_fma_f16 v26, v26, 2.0, -v51
	;; [unrolled: 1-line block ×4, first 2 shown]
	v_sub_f16_e32 v45, v55, v53
	v_fmac_f16_e32 v50, 0x39a8, v30
	v_fma_f16 v30, v57, 2.0, -v29
	v_fma_f16 v27, v27, 2.0, -v36
	v_fmamk_f16 v53, v36, 0x39a8, v51
	v_fmac_f16_e32 v20, 0xb9a8, v49
	v_fma_f16 v49, v17, 2.0, -v60
	v_fmac_f16_e32 v19, 0xb9a8, v46
	v_fmamk_f16 v46, v29, 0x39a8, v28
	v_fma_f16 v47, v47, 2.0, -v61
	v_fmac_f16_e32 v53, 0xb9a8, v29
	v_fmamk_f16 v29, v30, 0xb9a8, v24
	v_fmamk_f16 v56, v27, 0xb9a8, v26
	;; [unrolled: 1-line block ×3, first 2 shown]
	v_sub_f16_e32 v54, v52, v54
	v_sub_f16_e32 v22, v31, v22
	;; [unrolled: 1-line block ×3, first 2 shown]
	v_fma_f16 v43, v43, 2.0, -v62
	v_fma_f16 v44, v44, 2.0, -v19
	;; [unrolled: 1-line block ×4, first 2 shown]
	v_fmac_f16_e32 v29, 0x39a8, v27
	v_fmamk_f16 v27, v47, 0xb61f, v41
	v_fmac_f16_e32 v56, 0xb9a8, v30
	v_fmamk_f16 v30, v50, 0x361f, v62
	v_fmamk_f16 v17, v60, 0x3b64, v58
	v_fmac_f16_e32 v46, 0x39a8, v36
	v_fmamk_f16 v36, v61, 0x3b64, v59
	v_fmac_f16_e32 v57, 0x3b64, v47
	v_fmamk_f16 v47, v20, 0x361f, v19
	v_fma_f16 v52, v52, 2.0, -v54
	v_fma_f16 v31, v31, 2.0, -v22
	;; [unrolled: 1-line block ×4, first 2 shown]
	v_fmac_f16_e32 v27, 0xbb64, v49
	v_fmamk_f16 v49, v48, 0xbb64, v43
	v_fmac_f16_e32 v30, 0x3b64, v20
	v_fmamk_f16 v20, v39, 0xbb64, v44
	v_fmac_f16_e32 v17, 0x361f, v61
	v_fmac_f16_e32 v36, 0xb61f, v60
	v_add_f16_e32 v25, v54, v25
	v_sub_f16_e32 v45, v22, v45
	v_fmac_f16_e32 v47, 0xbb64, v50
	v_lshlrev_b32_e32 v16, 2, v16
	v_sub_f16_e32 v55, v52, v55
	v_sub_f16_e32 v23, v31, v23
	v_fmac_f16_e32 v49, 0x361f, v39
	v_fmac_f16_e32 v20, 0xb61f, v48
	v_fma_f16 v28, v28, 2.0, -v46
	v_fma_f16 v50, v51, 2.0, -v53
	;; [unrolled: 1-line block ×12, first 2 shown]
	v_add3_u32 v16, 0, v16, v34
	v_fma_f16 v52, v52, 2.0, -v55
	v_fma_f16 v31, v31, 2.0, -v23
	v_pack_b32_f16 v29, v29, v56
	v_pack_b32_f16 v27, v57, v27
	v_fma_f16 v43, v43, 2.0, -v49
	v_fma_f16 v44, v44, 2.0, -v20
	v_pack_b32_f16 v25, v25, v45
	v_pack_b32_f16 v45, v46, v53
	;; [unrolled: 1-line block ×6, first 2 shown]
	v_add_nc_u32_e32 v42, 0x200, v6
	v_pack_b32_f16 v24, v24, v26
	v_pack_b32_f16 v26, v39, v40
	;; [unrolled: 1-line block ×6, first 2 shown]
	s_barrier
	buffer_gl0_inv
	v_pack_b32_f16 v31, v52, v31
	ds_write2_b32 v16, v29, v27 offset0:30 offset1:33
	v_pack_b32_f16 v27, v43, v44
	ds_write2_b32 v16, v45, v46 offset0:42 offset1:45
	ds_write2_b32 v16, v28, v48 offset0:18 offset1:21
	;; [unrolled: 1-line block ×6, first 2 shown]
	ds_write2_b32 v16, v31, v27 offset1:3
	s_waitcnt lgkmcnt(0)
	s_barrier
	buffer_gl0_inv
	ds_read2_b32 v[30:31], v6 offset0:144 offset1:171
	ds_read2_b32 v[22:23], v42 offset0:124 offset1:160
	;; [unrolled: 1-line block ×5, first 2 shown]
	ds_read_b32 v16, v32
	ds_read_b32 v42, v33
	;; [unrolled: 1-line block ×5, first 2 shown]
	v_lshrrev_b32_e32 v19, 16, v38
	s_and_saveexec_b32 s1, s0
	s_cbranch_execz .LBB0_17
; %bb.16:
	v_add_nc_u32_e32 v18, 0x400, v6
	ds_read_b32 v17, v35
	ds_read2_b32 v[18:19], v18 offset0:23 offset1:167
	s_waitcnt lgkmcnt(1)
	v_lshrrev_b32_e32 v36, 16, v17
	s_waitcnt lgkmcnt(0)
	v_lshrrev_b32_e32 v38, 16, v18
	v_lshrrev_b32_e32 v37, 16, v19
.LBB0_17:
	s_or_b32 exec_lo, exec_lo, s1
	v_subrev_nc_u32_e32 v20, 21, v3
	v_cmp_gt_u32_e64 s1, 21, v3
	v_mov_b32_e32 v44, 0
	v_lshlrev_b32_e32 v43, 1, v3
	v_and_b32_e32 v49, 0xff, v13
	v_and_b32_e32 v52, 0xff, v11
	v_cndmask_b32_e64 v57, v20, v5, s1
	v_mov_b32_e32 v46, v44
	v_lshlrev_b64 v[20:21], 2, v[43:44]
	v_add_nc_u32_e32 v43, 12, v43
	v_mul_lo_u16 v49, 0xab, v49
	v_lshlrev_b32_e32 v45, 1, v57
	v_mov_b32_e32 v55, 3
	v_and_b32_e32 v53, 0xff, v9
	v_add_co_u32 v20, s1, s12, v20
	v_lshlrev_b64 v[45:46], 2, v[45:46]
	v_lshlrev_b64 v[43:44], 2, v[43:44]
	v_add_co_ci_u32_e64 v21, s1, s13, v21, s1
	v_lshrrev_b16 v58, 13, v49
	v_mul_lo_u16 v53, 0xab, v53
	v_add_co_u32 v45, s1, s12, v45
	v_add_co_ci_u32_e64 v46, s1, s13, v46, s1
	v_add_co_u32 v43, s1, s12, v43
	global_load_dwordx2 v[47:48], v[20:21], off offset:180
	v_add_co_ci_u32_e64 v44, s1, s13, v44, s1
	global_load_dwordx2 v[45:46], v[45:46], off offset:180
	v_mul_lo_u16 v51, v58, 48
	s_waitcnt lgkmcnt(9)
	v_lshrrev_b32_e32 v60, 16, v30
	global_load_dwordx2 v[49:50], v[43:44], off offset:180
	v_mul_lo_u16 v43, 0xab, v52
	s_waitcnt lgkmcnt(8)
	v_lshrrev_b32_e32 v61, 16, v23
	v_sub_nc_u16 v44, v13, v51
	v_lshrrev_b32_e32 v63, 16, v31
	v_cmp_lt_u32_e64 s1, 20, v3
	v_lshrrev_b16 v43, 13, v43
	v_lshlrev_b32_e32 v57, 2, v57
	v_lshlrev_b32_sdwa v51, v55, v44 dst_sel:DWORD dst_unused:UNUSED_PAD src0_sel:DWORD src1_sel:BYTE_0
	v_and_b32_e32 v58, 0xffff, v58
	v_mul_lo_u16 v43, v43, 48
	global_load_dwordx2 v[51:52], v51, s[12:13] offset:180
	v_sub_nc_u16 v59, v11, v43
	v_lshrrev_b16 v43, 13, v53
	v_lshlrev_b32_sdwa v53, v55, v59 dst_sel:DWORD dst_unused:UNUSED_PAD src0_sel:DWORD src1_sel:BYTE_0
	v_mul_lo_u16 v43, v43, 48
	global_load_dwordx2 v[53:54], v53, s[12:13] offset:180
	v_sub_nc_u16 v43, v9, v43
	v_lshlrev_b32_sdwa v55, v55, v43 dst_sel:DWORD dst_unused:UNUSED_PAD src0_sel:DWORD src1_sel:BYTE_0
	global_load_dwordx2 v[55:56], v55, s[12:13] offset:180
	s_waitcnt vmcnt(0) lgkmcnt(0)
	s_barrier
	buffer_gl0_inv
	v_mul_f16_sdwa v62, v47, v30 dst_sel:DWORD dst_unused:UNUSED_PAD src0_sel:WORD_1 src1_sel:DWORD
	v_mul_f16_sdwa v64, v48, v23 dst_sel:DWORD dst_unused:UNUSED_PAD src0_sel:WORD_1 src1_sel:DWORD
	;; [unrolled: 1-line block ×4, first 2 shown]
	v_fma_f16 v60, v47, v60, -v62
	v_lshrrev_b32_e32 v62, 16, v28
	v_fma_f16 v61, v48, v61, -v64
	v_mul_f16_sdwa v64, v45, v63 dst_sel:DWORD dst_unused:UNUSED_PAD src0_sel:WORD_1 src1_sel:DWORD
	v_fmac_f16_e32 v65, v47, v30
	v_fmac_f16_e32 v66, v48, v23
	v_lshrrev_b32_e32 v23, 16, v29
	v_mul_f16_sdwa v30, v45, v31 dst_sel:DWORD dst_unused:UNUSED_PAD src0_sel:WORD_1 src1_sel:DWORD
	v_fmac_f16_e32 v64, v45, v31
	v_mul_f16_sdwa v31, v46, v28 dst_sel:DWORD dst_unused:UNUSED_PAD src0_sel:WORD_1 src1_sel:DWORD
	v_mul_f16_sdwa v47, v46, v62 dst_sel:DWORD dst_unused:UNUSED_PAD src0_sel:WORD_1 src1_sel:DWORD
	v_lshrrev_b32_e32 v48, 16, v26
	v_fma_f16 v30, v45, v63, -v30
	v_mul_f16_sdwa v45, v50, v23 dst_sel:DWORD dst_unused:UNUSED_PAD src0_sel:WORD_1 src1_sel:DWORD
	v_fma_f16 v31, v46, v62, -v31
	v_fmac_f16_e32 v47, v46, v28
	v_lshrrev_b32_e32 v28, 16, v27
	v_mul_f16_sdwa v46, v49, v26 dst_sel:DWORD dst_unused:UNUSED_PAD src0_sel:WORD_1 src1_sel:DWORD
	v_fmac_f16_e32 v45, v50, v29
	v_mul_f16_sdwa v29, v50, v29 dst_sel:DWORD dst_unused:UNUSED_PAD src0_sel:WORD_1 src1_sel:DWORD
	v_mul_f16_sdwa v62, v49, v48 dst_sel:DWORD dst_unused:UNUSED_PAD src0_sel:WORD_1 src1_sel:DWORD
	v_lshrrev_b32_e32 v63, 16, v42
	v_fma_f16 v46, v49, v48, -v46
	v_mul_f16_sdwa v48, v51, v28 dst_sel:DWORD dst_unused:UNUSED_PAD src0_sel:WORD_1 src1_sel:DWORD
	v_fma_f16 v29, v50, v23, -v29
	v_lshrrev_b32_e32 v23, 16, v24
	v_fmac_f16_e32 v62, v49, v26
	v_mul_f16_sdwa v49, v51, v27 dst_sel:DWORD dst_unused:UNUSED_PAD src0_sel:WORD_1 src1_sel:DWORD
	v_cndmask_b32_e64 v50, 0, 0x240, s1
	v_lshrrev_b32_e32 v26, 16, v22
	v_fmac_f16_e32 v48, v51, v27
	v_mul_f16_sdwa v27, v24, v52 dst_sel:DWORD dst_unused:UNUSED_PAD src0_sel:DWORD src1_sel:WORD_1
	v_fma_f16 v28, v51, v28, -v49
	v_mul_f16_sdwa v49, v23, v52 dst_sel:DWORD dst_unused:UNUSED_PAD src0_sel:DWORD src1_sel:WORD_1
	v_lshrrev_b32_e32 v51, 16, v25
	v_add_nc_u32_e32 v50, 0, v50
	v_fma_f16 v27, v23, v52, -v27
	v_mov_b32_e32 v23, 2
	v_fmac_f16_e32 v49, v24, v52
	v_mul_f16_sdwa v24, v26, v53 dst_sel:DWORD dst_unused:UNUSED_PAD src0_sel:DWORD src1_sel:WORD_1
	v_add3_u32 v50, v50, v57, v34
	v_mul_f16_sdwa v57, v51, v54 dst_sel:DWORD dst_unused:UNUSED_PAD src0_sel:DWORD src1_sel:WORD_1
	v_mad_u32_u24 v52, 0x240, v58, 0
	v_lshlrev_b32_sdwa v44, v23, v44 dst_sel:DWORD dst_unused:UNUSED_PAD src0_sel:DWORD src1_sel:BYTE_0
	v_fmac_f16_e32 v24, v22, v53
	v_mul_f16_sdwa v22, v22, v53 dst_sel:DWORD dst_unused:UNUSED_PAD src0_sel:DWORD src1_sel:WORD_1
	v_fmac_f16_e32 v57, v25, v54
	v_mul_f16_sdwa v25, v25, v54 dst_sel:DWORD dst_unused:UNUSED_PAD src0_sel:DWORD src1_sel:WORD_1
	v_lshrrev_b32_e32 v58, 16, v16
	v_add3_u32 v44, v52, v44, v34
	v_fma_f16 v22, v26, v53, -v22
	v_add_f16_e32 v53, v65, v66
	v_fma_f16 v25, v51, v54, -v25
	v_add_f16_e32 v51, v16, v65
	v_mul_f16_sdwa v52, v38, v55 dst_sel:DWORD dst_unused:UNUSED_PAD src0_sel:DWORD src1_sel:WORD_1
	v_sub_f16_e32 v65, v65, v66
	v_fmac_f16_e32 v16, -0.5, v53
	v_add_f16_e32 v53, v60, v61
	v_add_f16_e32 v51, v51, v66
	;; [unrolled: 1-line block ×3, first 2 shown]
	v_mul_f16_sdwa v26, v37, v56 dst_sel:DWORD dst_unused:UNUSED_PAD src0_sel:DWORD src1_sel:WORD_1
	v_mul_f16_sdwa v54, v18, v55 dst_sel:DWORD dst_unused:UNUSED_PAD src0_sel:DWORD src1_sel:WORD_1
	v_fmac_f16_e32 v52, v18, v55
	v_mul_f16_sdwa v18, v19, v56 dst_sel:DWORD dst_unused:UNUSED_PAD src0_sel:DWORD src1_sel:WORD_1
	v_sub_f16_e32 v60, v60, v61
	v_add_f16_e32 v61, v66, v61
	v_fmac_f16_e32 v58, -0.5, v53
	v_fmac_f16_e32 v26, v19, v56
	v_lshrrev_b32_e32 v19, 16, v41
	v_fma_f16 v38, v38, v55, -v54
	v_fma_f16 v18, v37, v56, -v18
	v_fmamk_f16 v37, v60, 0xbaee, v16
	v_fmac_f16_e32 v16, 0x3aee, v60
	v_fmamk_f16 v55, v65, 0x3aee, v58
	v_fmac_f16_e32 v58, 0xbaee, v65
	v_add_f16_e32 v56, v42, v64
	v_add_f16_e32 v60, v64, v47
	v_sub_f16_e32 v65, v30, v31
	v_pack_b32_f16 v51, v51, v61
	v_add_f16_e32 v61, v63, v30
	v_add_f16_e32 v30, v30, v31
	v_lshrrev_b32_e32 v66, 16, v39
	v_sub_f16_e32 v64, v64, v47
	v_add_f16_e32 v47, v56, v47
	v_add_f16_e32 v56, v41, v62
	v_fmac_f16_e32 v42, -0.5, v60
	v_add_f16_e32 v60, v62, v45
	v_add_f16_e32 v61, v61, v31
	v_fmac_f16_e32 v63, -0.5, v30
	v_add_f16_e32 v30, v19, v46
	v_add_f16_e32 v31, v46, v29
	v_lshrrev_b32_e32 v53, 16, v40
	v_sub_f16_e32 v67, v46, v29
	v_sub_f16_e32 v46, v62, v45
	v_add_f16_e32 v45, v56, v45
	v_add_f16_e32 v56, v39, v48
	v_fmac_f16_e32 v41, -0.5, v60
	v_add_f16_e32 v60, v48, v49
	v_add_f16_e32 v29, v30, v29
	v_sub_f16_e32 v62, v28, v27
	v_fmac_f16_e32 v19, -0.5, v31
	v_add_f16_e32 v30, v66, v28
	v_add_f16_e32 v28, v28, v27
	;; [unrolled: 1-line block ×3, first 2 shown]
	v_sub_f16_e32 v48, v48, v49
	v_pack_b32_f16 v37, v37, v55
	v_pack_b32_f16 v16, v16, v58
	v_add_f16_e32 v55, v24, v57
	v_add_f16_e32 v49, v56, v49
	v_sub_f16_e32 v56, v22, v25
	v_fmac_f16_e32 v39, -0.5, v60
	v_add_f16_e32 v58, v53, v22
	v_add_f16_e32 v22, v22, v25
	v_sub_f16_e32 v24, v24, v57
	v_fmac_f16_e32 v66, -0.5, v28
	v_add_f16_e32 v28, v52, v26
	v_add_f16_e32 v57, v31, v57
	v_sub_f16_e32 v60, v38, v18
	v_add_f16_e32 v31, v36, v38
	v_add_f16_e32 v38, v38, v18
	;; [unrolled: 1-line block ×4, first 2 shown]
	v_lshlrev_b32_sdwa v59, v23, v59 dst_sel:DWORD dst_unused:UNUSED_PAD src0_sel:DWORD src1_sel:BYTE_0
	v_fmac_f16_e32 v40, -0.5, v55
	v_sub_f16_e32 v52, v52, v26
	v_fmac_f16_e32 v53, -0.5, v22
	v_fmac_f16_e32 v17, -0.5, v28
	v_add_f16_e32 v31, v31, v18
	v_fmac_f16_e32 v36, -0.5, v38
	v_fmamk_f16 v18, v65, 0xbaee, v42
	v_fmamk_f16 v22, v64, 0x3aee, v63
	v_fmac_f16_e32 v42, 0x3aee, v65
	v_fmac_f16_e32 v63, 0xbaee, v64
	v_add_f16_e32 v30, v30, v26
	v_fmamk_f16 v26, v67, 0xbaee, v41
	v_fmamk_f16 v28, v46, 0x3aee, v19
	v_fmac_f16_e32 v41, 0x3aee, v67
	v_fmac_f16_e32 v19, 0xbaee, v46
	v_pack_b32_f16 v29, v45, v29
	v_fmamk_f16 v45, v62, 0xbaee, v39
	v_fmamk_f16 v46, v48, 0x3aee, v66
	v_add3_u32 v59, 0, v59, v34
	v_add_f16_e32 v25, v58, v25
	ds_write2_b32 v6, v51, v37 offset1:48
	ds_write_b32 v6, v16 offset:384
	v_pack_b32_f16 v38, v47, v61
	v_fmac_f16_e32 v39, 0x3aee, v62
	v_fmac_f16_e32 v66, 0xbaee, v48
	v_fmamk_f16 v47, v56, 0xbaee, v40
	v_fmac_f16_e32 v40, 0x3aee, v56
	v_fmamk_f16 v48, v24, 0x3aee, v53
	;; [unrolled: 2-line block ×4, first 2 shown]
	v_fmac_f16_e32 v36, 0xbaee, v52
	v_pack_b32_f16 v18, v18, v22
	v_pack_b32_f16 v22, v42, v63
	;; [unrolled: 1-line block ×6, first 2 shown]
	v_add_nc_u32_e32 v54, 0x400, v59
	v_pack_b32_f16 v25, v57, v25
	v_pack_b32_f16 v28, v39, v66
	;; [unrolled: 1-line block ×4, first 2 shown]
	ds_write2_b32 v50, v38, v18 offset1:48
	ds_write_b32 v50, v22 offset:384
	ds_write2_b32 v6, v29, v26 offset0:150 offset1:198
	ds_write_b32 v6, v19 offset:984
	ds_write2_b32 v44, v24, v27 offset1:48
	ds_write_b32 v44, v28 offset:384
	ds_write2_b32 v54, v25, v39 offset0:32 offset1:80
	ds_write_b32 v59, v40 offset:1536
	s_and_saveexec_b32 s1, s0
	s_cbranch_execz .LBB0_19
; %bb.18:
	v_lshlrev_b32_sdwa v18, v23, v43 dst_sel:DWORD dst_unused:UNUSED_PAD src0_sel:DWORD src1_sel:BYTE_0
	v_perm_b32 v19, v31, v30, 0x5040100
	v_perm_b32 v22, v37, v16, 0x5040100
	;; [unrolled: 1-line block ×3, first 2 shown]
	v_add3_u32 v18, 0, v18, v34
	v_add_nc_u32_e32 v23, 0x400, v18
	ds_write2_b32 v23, v19, v22 offset0:32 offset1:80
	ds_write_b32 v18, v24 offset:1536
.LBB0_19:
	s_or_b32 exec_lo, exec_lo, s1
	v_add_nc_u32_e32 v18, 0x200, v6
	v_add_nc_u32_e32 v22, 0x400, v6
	s_waitcnt lgkmcnt(0)
	s_barrier
	buffer_gl0_inv
	ds_read2_b32 v[28:29], v6 offset0:144 offset1:171
	ds_read2_b32 v[18:19], v18 offset0:124 offset1:160
	;; [unrolled: 1-line block ×5, first 2 shown]
	ds_read_b32 v41, v32
	ds_read_b32 v40, v33
	;; [unrolled: 1-line block ×5, first 2 shown]
	s_and_saveexec_b32 s1, s0
	s_cbranch_execz .LBB0_21
; %bb.20:
	v_add_nc_u32_e32 v16, 0x400, v6
	ds_read_b32 v30, v35
	ds_read2_b32 v[16:17], v16 offset0:23 offset1:167
	s_waitcnt lgkmcnt(1)
	v_lshrrev_b32_e32 v31, 16, v30
	s_waitcnt lgkmcnt(0)
	v_lshrrev_b32_e32 v37, 16, v16
	v_lshrrev_b32_e32 v36, 16, v17
.LBB0_21:
	s_or_b32 exec_lo, exec_lo, s1
	global_load_dwordx2 v[42:43], v[20:21], off offset:564
	v_lshlrev_b32_e32 v20, 1, v5
	v_mov_b32_e32 v21, 0
	s_waitcnt lgkmcnt(9)
	v_lshrrev_b32_e32 v56, 16, v28
	s_waitcnt lgkmcnt(8)
	v_lshrrev_b32_e32 v57, 16, v19
	v_lshrrev_b32_e32 v58, 16, v29
	s_waitcnt lgkmcnt(7)
	v_lshrrev_b32_e32 v59, 16, v26
	v_lshlrev_b64 v[44:45], 2, v[20:21]
	v_lshlrev_b32_e32 v20, 1, v15
	v_lshrrev_b32_e32 v63, 16, v27
	s_waitcnt lgkmcnt(6)
	v_lshrrev_b32_e32 v64, 16, v24
	s_waitcnt lgkmcnt(3)
	v_lshrrev_b32_e32 v35, 16, v40
	v_lshrrev_b32_e32 v54, 16, v22
	v_lshlrev_b64 v[46:47], 2, v[20:21]
	v_lshlrev_b32_e32 v20, 1, v13
	v_add_co_u32 v44, s1, s12, v44
	v_add_co_ci_u32_e64 v45, s1, s13, v45, s1
	v_lshlrev_b64 v[48:49], 2, v[20:21]
	v_lshlrev_b32_e32 v20, 1, v11
	v_add_co_u32 v46, s1, s12, v46
	global_load_dwordx2 v[44:45], v[44:45], off offset:564
	v_add_co_ci_u32_e64 v47, s1, s13, v47, s1
	v_lshlrev_b64 v[50:51], 2, v[20:21]
	v_add_co_u32 v48, s1, s12, v48
	global_load_dwordx2 v[46:47], v[46:47], off offset:564
	v_add_co_ci_u32_e64 v49, s1, s13, v49, s1
	v_add_co_u32 v50, s1, s12, v50
	v_add_co_ci_u32_e64 v51, s1, s13, v51, s1
	global_load_dwordx2 v[48:49], v[48:49], off offset:564
	v_lshrrev_b32_e32 v20, 16, v41
	v_lshrrev_b32_e32 v62, 16, v25
	global_load_dwordx2 v[50:51], v[50:51], off offset:564
	s_waitcnt lgkmcnt(2)
	v_lshrrev_b32_e32 v52, 16, v39
	v_lshrrev_b32_e32 v60, 16, v18
	;; [unrolled: 1-line block ×3, first 2 shown]
	s_waitcnt vmcnt(0) lgkmcnt(0)
	s_barrier
	buffer_gl0_inv
	v_lshrrev_b32_e32 v53, 16, v38
	v_lshrrev_b32_e32 v55, 16, v34
	v_mul_f16_sdwa v65, v42, v28 dst_sel:DWORD dst_unused:UNUSED_PAD src0_sel:WORD_1 src1_sel:DWORD
	v_mul_f16_sdwa v66, v42, v56 dst_sel:DWORD dst_unused:UNUSED_PAD src0_sel:WORD_1 src1_sel:DWORD
	v_mul_f16_sdwa v67, v43, v57 dst_sel:DWORD dst_unused:UNUSED_PAD src0_sel:WORD_1 src1_sel:DWORD
	v_mul_f16_sdwa v68, v43, v19 dst_sel:DWORD dst_unused:UNUSED_PAD src0_sel:WORD_1 src1_sel:DWORD
	v_fma_f16 v56, v42, v56, -v65
	v_fmac_f16_e32 v66, v42, v28
	v_fmac_f16_e32 v67, v43, v19
	v_fma_f16 v19, v43, v57, -v68
	v_add_f16_e32 v65, v20, v56
	v_add_f16_e32 v28, v41, v66
	;; [unrolled: 1-line block ×4, first 2 shown]
	v_sub_f16_e32 v57, v66, v67
	v_sub_f16_e32 v56, v56, v19
	v_add_f16_e32 v28, v28, v67
	v_fmac_f16_e32 v41, -0.5, v42
	v_fmac_f16_e32 v20, -0.5, v43
	v_add_f16_e32 v19, v65, v19
	v_fmamk_f16 v67, v56, 0xbaee, v41
	v_mul_f16_sdwa v42, v44, v58 dst_sel:DWORD dst_unused:UNUSED_PAD src0_sel:WORD_1 src1_sel:DWORD
	v_mul_f16_sdwa v43, v44, v29 dst_sel:DWORD dst_unused:UNUSED_PAD src0_sel:WORD_1 src1_sel:DWORD
	;; [unrolled: 1-line block ×4, first 2 shown]
	v_fmac_f16_e32 v41, 0x3aee, v56
	v_fmamk_f16 v56, v57, 0x3aee, v20
	v_fmac_f16_e32 v20, 0xbaee, v57
	v_pack_b32_f16 v19, v28, v19
	v_fmac_f16_e32 v42, v44, v29
	v_fma_f16 v28, v44, v58, -v43
	v_fma_f16 v29, v45, v59, -v65
	v_fmac_f16_e32 v66, v45, v26
	v_mul_f16_sdwa v26, v46, v24 dst_sel:DWORD dst_unused:UNUSED_PAD src0_sel:WORD_1 src1_sel:DWORD
	v_mul_f16_sdwa v43, v46, v64 dst_sel:DWORD dst_unused:UNUSED_PAD src0_sel:WORD_1 src1_sel:DWORD
	;; [unrolled: 1-line block ×4, first 2 shown]
	v_pack_b32_f16 v56, v67, v56
	v_pack_b32_f16 v20, v41, v20
	v_fma_f16 v26, v46, v64, -v26
	v_fmac_f16_e32 v43, v46, v24
	v_fmac_f16_e32 v44, v47, v27
	v_fma_f16 v24, v47, v63, -v45
	v_mul_f16_sdwa v27, v48, v62 dst_sel:DWORD dst_unused:UNUSED_PAD src0_sel:WORD_1 src1_sel:DWORD
	v_mul_f16_sdwa v41, v48, v25 dst_sel:DWORD dst_unused:UNUSED_PAD src0_sel:WORD_1 src1_sel:DWORD
	v_mul_f16_sdwa v45, v54, v49 dst_sel:DWORD dst_unused:UNUSED_PAD src0_sel:DWORD src1_sel:WORD_1
	v_mul_f16_sdwa v46, v22, v49 dst_sel:DWORD dst_unused:UNUSED_PAD src0_sel:DWORD src1_sel:WORD_1
	v_sub_f16_e32 v58, v28, v29
	v_add_f16_e32 v59, v35, v28
	v_add_f16_e32 v28, v28, v29
	;; [unrolled: 1-line block ×4, first 2 shown]
	v_sub_f16_e32 v42, v42, v66
	ds_write2_b32 v6, v19, v56 offset1:144
	ds_write_b32 v6, v20 offset:1152
	v_fmac_f16_e32 v27, v48, v25
	v_fma_f16 v19, v48, v62, -v41
	v_fmac_f16_e32 v45, v22, v49
	v_fma_f16 v20, v54, v49, -v46
	v_mul_f16_sdwa v22, v60, v50 dst_sel:DWORD dst_unused:UNUSED_PAD src0_sel:DWORD src1_sel:WORD_1
	v_mul_f16_sdwa v25, v18, v50 dst_sel:DWORD dst_unused:UNUSED_PAD src0_sel:DWORD src1_sel:WORD_1
	;; [unrolled: 1-line block ×4, first 2 shown]
	v_fmac_f16_e32 v35, -0.5, v28
	v_add_f16_e32 v48, v43, v44
	v_sub_f16_e32 v49, v26, v24
	v_add_f16_e32 v54, v52, v26
	v_add_f16_e32 v26, v26, v24
	;; [unrolled: 1-line block ×5, first 2 shown]
	v_sub_f16_e32 v43, v43, v44
	v_fmac_f16_e32 v22, v18, v50
	v_fma_f16 v18, v60, v50, -v25
	v_fmac_f16_e32 v41, v23, v51
	v_fma_f16 v23, v61, v51, -v46
	v_fmamk_f16 v46, v42, 0x3aee, v35
	v_fmac_f16_e32 v35, 0xbaee, v42
	v_fmac_f16_e32 v39, -0.5, v48
	v_fmac_f16_e32 v52, -0.5, v26
	v_add_f16_e32 v26, v38, v27
	v_add_f16_e32 v42, v27, v45
	v_fmac_f16_e32 v40, -0.5, v57
	v_add_f16_e32 v28, v28, v44
	v_sub_f16_e32 v44, v19, v20
	v_add_f16_e32 v48, v53, v19
	v_add_f16_e32 v19, v19, v20
	v_sub_f16_e32 v27, v27, v45
	v_pack_b32_f16 v29, v47, v29
	v_fmamk_f16 v47, v49, 0xbaee, v39
	v_fmac_f16_e32 v39, 0x3aee, v49
	v_fmamk_f16 v49, v43, 0x3aee, v52
	v_fmac_f16_e32 v52, 0xbaee, v43
	v_add_f16_e32 v26, v26, v45
	v_fmac_f16_e32 v38, -0.5, v42
	v_add_f16_e32 v42, v22, v41
	v_sub_f16_e32 v43, v18, v23
	v_add_f16_e32 v45, v55, v18
	v_add_f16_e32 v18, v18, v23
	v_fmamk_f16 v25, v58, 0xbaee, v40
	v_fmac_f16_e32 v40, 0x3aee, v58
	v_add_f16_e32 v24, v54, v24
	v_fmac_f16_e32 v53, -0.5, v19
	v_add_f16_e32 v20, v48, v20
	v_add_f16_e32 v19, v34, v22
	v_sub_f16_e32 v22, v22, v41
	v_fmac_f16_e32 v34, -0.5, v42
	v_fmac_f16_e32 v55, -0.5, v18
	v_pack_b32_f16 v25, v25, v46
	v_pack_b32_f16 v35, v40, v35
	;; [unrolled: 1-line block ×3, first 2 shown]
	v_fmamk_f16 v28, v44, 0xbaee, v38
	v_fmamk_f16 v40, v27, 0x3aee, v53
	v_pack_b32_f16 v18, v47, v49
	v_fmac_f16_e32 v38, 0x3aee, v44
	v_fmac_f16_e32 v53, 0xbaee, v27
	v_add_f16_e32 v19, v19, v41
	v_add_f16_e32 v23, v45, v23
	v_pack_b32_f16 v20, v26, v20
	v_fmamk_f16 v26, v43, 0xbaee, v34
	v_fmamk_f16 v27, v22, 0x3aee, v55
	v_fmac_f16_e32 v34, 0x3aee, v43
	v_fmac_f16_e32 v55, 0xbaee, v22
	ds_write2_b32 v33, v29, v25 offset1:144
	ds_write_b32 v33, v35 offset:1152
	v_pack_b32_f16 v25, v39, v52
	ds_write2_b32 v12, v24, v18 offset1:144
	v_pack_b32_f16 v18, v28, v40
	v_pack_b32_f16 v22, v38, v53
	;; [unrolled: 1-line block ×5, first 2 shown]
	ds_write_b32 v12, v25 offset:1152
	ds_write2_b32 v14, v20, v18 offset1:144
	ds_write_b32 v14, v22 offset:1152
	ds_write2_b32 v10, v19, v23 offset1:144
	ds_write_b32 v10, v24 offset:1152
	s_and_saveexec_b32 s1, s0
	s_cbranch_execz .LBB0_23
; %bb.22:
	v_add_nc_u32_e32 v10, -9, v3
	v_cndmask_b32_e64 v10, v10, v9, s0
	v_lshlrev_b32_e32 v20, 1, v10
	v_lshlrev_b64 v[18:19], 2, v[20:21]
	v_add_co_u32 v18, s0, s12, v18
	v_add_co_ci_u32_e64 v19, s0, s13, v19, s0
	global_load_dwordx2 v[18:19], v[18:19], off offset:564
	s_waitcnt vmcnt(0)
	v_mul_f16_sdwa v10, v17, v19 dst_sel:DWORD dst_unused:UNUSED_PAD src0_sel:DWORD src1_sel:WORD_1
	v_mul_f16_sdwa v12, v16, v18 dst_sel:DWORD dst_unused:UNUSED_PAD src0_sel:DWORD src1_sel:WORD_1
	;; [unrolled: 1-line block ×4, first 2 shown]
	v_fma_f16 v10, v36, v19, -v10
	v_fma_f16 v12, v37, v18, -v12
	v_fmac_f16_e32 v14, v16, v18
	v_fmac_f16_e32 v20, v17, v19
	v_add_f16_e32 v16, v12, v10
	v_add_f16_e32 v17, v31, v12
	;; [unrolled: 1-line block ×4, first 2 shown]
	v_sub_f16_e32 v14, v14, v20
	v_fmac_f16_e32 v31, -0.5, v16
	v_sub_f16_e32 v12, v12, v10
	v_fmac_f16_e32 v30, -0.5, v18
	v_add_f16_e32 v10, v17, v10
	v_add_f16_e32 v16, v19, v20
	v_fmamk_f16 v17, v14, 0xbaee, v31
	v_fmac_f16_e32 v31, 0x3aee, v14
	v_fmamk_f16 v14, v12, 0x3aee, v30
	v_fmac_f16_e32 v30, 0xbaee, v12
	v_add_nc_u32_e32 v12, 0x200, v6
	v_pack_b32_f16 v10, v16, v10
	v_pack_b32_f16 v14, v14, v17
	;; [unrolled: 1-line block ×3, first 2 shown]
	ds_write2_b32 v12, v10, v16 offset0:7 offset1:151
	ds_write_b32 v6, v14 offset:1692
.LBB0_23:
	s_or_b32 exec_lo, exec_lo, s1
	s_waitcnt lgkmcnt(0)
	s_barrier
	buffer_gl0_inv
	ds_read_b32 v6, v32
	v_sub_nc_u32_e32 v19, v0, v4
	s_mov_b32 s1, exec_lo
                                        ; implicit-def: $vgpr21
                                        ; implicit-def: $vgpr20
                                        ; implicit-def: $vgpr22
                                        ; implicit-def: $vgpr17_vgpr18
	v_cmpx_ne_u32_e32 0, v3
	s_xor_b32 s1, exec_lo, s1
	s_cbranch_execz .LBB0_25
; %bb.24:
	v_mov_b32_e32 v4, 0
	ds_read_b32 v12, v19 offset:1728
	v_lshlrev_b64 v[16:17], 2, v[3:4]
	v_add_co_u32 v16, s0, s12, v16
	v_add_co_ci_u32_e64 v17, s0, s13, v17, s0
	global_load_dword v10, v[16:17], off offset:1716
	v_mov_b32_e32 v18, v4
	v_mov_b32_e32 v17, v3
	s_waitcnt lgkmcnt(0)
	v_pk_add_f16 v14, v6, v12 neg_lo:[0,1] neg_hi:[0,1]
	v_pk_add_f16 v6, v12, v6
	v_bfi_b32 v12, 0xffff, v14, v6
	v_bfi_b32 v6, 0xffff, v6, v14
	v_pk_mul_f16 v12, v12, 0.5 op_sel_hi:[1,0]
	v_pk_mul_f16 v16, v6, 0.5 op_sel_hi:[1,0]
	s_waitcnt vmcnt(0)
	v_pk_mul_f16 v14, v10, v12 op_sel:[1,0]
	v_pk_mul_f16 v10, v10, v12 op_sel_hi:[0,1]
	v_pk_fma_f16 v6, v6, 0.5, v14 op_sel_hi:[1,0,1]
	v_sub_f16_e32 v12, v16, v14
	v_sub_f16_sdwa v14, v14, v16 dst_sel:DWORD dst_unused:UNUSED_PAD src0_sel:WORD_1 src1_sel:WORD_1
	v_pk_add_f16 v16, v6, v10 op_sel:[0,1] op_sel_hi:[1,0]
	v_pk_add_f16 v6, v6, v10 op_sel:[0,1] op_sel_hi:[1,0] neg_lo:[0,1] neg_hi:[0,1]
	v_sub_f16_sdwa v20, v12, v10 dst_sel:DWORD dst_unused:UNUSED_PAD src0_sel:DWORD src1_sel:WORD_1
	v_sub_f16_e32 v22, v14, v10
	v_bfi_b32 v21, 0xffff, v16, v6
                                        ; implicit-def: $vgpr6
.LBB0_25:
	s_andn2_saveexec_b32 s0, s1
	s_cbranch_execz .LBB0_27
; %bb.26:
	ds_read_u16 v4, v0 offset:866
	s_waitcnt lgkmcnt(1)
	v_alignbit_b32 v10, s0, v6, 16
	v_mov_b32_e32 v17, 0
	v_sub_f16_sdwa v20, v6, v6 dst_sel:DWORD dst_unused:UNUSED_PAD src0_sel:DWORD src1_sel:WORD_1
	v_mov_b32_e32 v18, 0
	v_mov_b32_e32 v22, 0
	v_pk_add_f16 v10, v10, v6
	v_pack_b32_f16 v21, v10, 0
	s_waitcnt lgkmcnt(0)
	v_xor_b32_e32 v4, 0x8000, v4
	ds_write_b16 v0, v4 offset:866
.LBB0_27:
	s_or_b32 exec_lo, exec_lo, s0
	s_waitcnt lgkmcnt(0)
	v_mov_b32_e32 v6, 0
	ds_write_b16 v19, v22 offset:1730
	v_lshl_add_u32 v22, v5, 2, v0
	ds_write_b32 v32, v21
	ds_write_b16 v19, v20 offset:1728
	v_lshlrev_b64 v[23:24], 2, v[5:6]
	v_mov_b32_e32 v16, v6
	v_mov_b32_e32 v14, v6
	;; [unrolled: 1-line block ×4, first 2 shown]
	v_lshlrev_b64 v[4:5], 2, v[17:18]
	v_add_co_u32 v23, s0, s12, v23
	v_add_co_ci_u32_e64 v24, s0, s13, v24, s0
	global_load_dword v25, v[23:24], off offset:1716
	v_lshlrev_b64 v[23:24], 2, v[15:16]
	v_lshl_add_u32 v15, v15, 2, v0
	v_add_co_u32 v23, s0, s12, v23
	v_add_co_ci_u32_e64 v24, s0, s13, v24, s0
	global_load_dword v16, v[23:24], off offset:1716
	v_lshlrev_b64 v[23:24], 2, v[13:14]
	v_lshl_add_u32 v13, v13, 2, v0
	;; [unrolled: 5-line block ×4, first 2 shown]
	v_add_co_u32 v23, s0, s12, v23
	v_add_co_ci_u32_e64 v24, s0, s13, v24, s0
	s_add_u32 s0, s12, 0x6b4
	s_addc_u32 s1, s13, 0
	v_add_co_u32 v4, s0, s0, v4
	global_load_dword v10, v[23:24], off offset:1716
	v_add_co_ci_u32_e64 v5, s0, s1, v5, s0
	ds_read_b32 v17, v22
	ds_read_b32 v18, v19 offset:1620
	s_clause 0x1
	global_load_dword v20, v[4:5], off offset:648
	global_load_dword v4, v[4:5], off offset:756
	s_waitcnt lgkmcnt(0)
	v_pk_add_f16 v21, v17, v18 neg_lo:[0,1] neg_hi:[0,1]
	v_pk_add_f16 v17, v17, v18
	v_bfi_b32 v18, 0xffff, v21, v17
	v_bfi_b32 v17, 0xffff, v17, v21
	v_pk_mul_f16 v18, v18, 0.5 op_sel_hi:[1,0]
	v_pk_mul_f16 v17, v17, 0.5 op_sel_hi:[1,0]
	s_waitcnt vmcnt(6)
	v_pk_fma_f16 v5, v25, v18, v17 op_sel:[1,0,0]
	v_pk_mul_f16 v21, v25, v18 op_sel_hi:[0,1]
	v_pk_fma_f16 v23, v25, v18, v17 op_sel:[1,0,0] neg_lo:[1,0,0] neg_hi:[1,0,0]
	v_pk_fma_f16 v17, v25, v18, v17 op_sel:[1,0,0] neg_lo:[0,0,1] neg_hi:[0,0,1]
	v_pk_add_f16 v18, v5, v21 op_sel:[0,1] op_sel_hi:[1,0]
	v_pk_add_f16 v5, v5, v21 op_sel:[0,1] op_sel_hi:[1,0] neg_lo:[0,1] neg_hi:[0,1]
	v_pk_add_f16 v23, v23, v21 op_sel:[0,1] op_sel_hi:[1,0] neg_lo:[0,1] neg_hi:[0,1]
	v_pk_add_f16 v17, v17, v21 op_sel:[0,1] op_sel_hi:[1,0] neg_lo:[0,1] neg_hi:[0,1]
	v_bfi_b32 v5, 0xffff, v18, v5
	v_bfi_b32 v17, 0xffff, v23, v17
	ds_write_b32 v22, v5
	ds_write_b32 v19, v17 offset:1620
	ds_read_b32 v5, v15
	ds_read_b32 v17, v19 offset:1512
	s_waitcnt lgkmcnt(0)
	v_pk_add_f16 v18, v5, v17 neg_lo:[0,1] neg_hi:[0,1]
	v_pk_add_f16 v5, v5, v17
	v_bfi_b32 v17, 0xffff, v18, v5
	v_bfi_b32 v5, 0xffff, v5, v18
	v_pk_mul_f16 v17, v17, 0.5 op_sel_hi:[1,0]
	v_pk_mul_f16 v5, v5, 0.5 op_sel_hi:[1,0]
	s_waitcnt vmcnt(5)
	v_pk_mul_f16 v21, v16, v17 op_sel_hi:[0,1]
	v_pk_fma_f16 v18, v16, v17, v5 op_sel:[1,0,0]
	v_pk_fma_f16 v22, v16, v17, v5 op_sel:[1,0,0] neg_lo:[1,0,0] neg_hi:[1,0,0]
	v_pk_fma_f16 v5, v16, v17, v5 op_sel:[1,0,0] neg_lo:[0,0,1] neg_hi:[0,0,1]
	v_pk_add_f16 v16, v18, v21 op_sel:[0,1] op_sel_hi:[1,0]
	v_pk_add_f16 v17, v18, v21 op_sel:[0,1] op_sel_hi:[1,0] neg_lo:[0,1] neg_hi:[0,1]
	v_pk_add_f16 v18, v22, v21 op_sel:[0,1] op_sel_hi:[1,0] neg_lo:[0,1] neg_hi:[0,1]
	v_pk_add_f16 v5, v5, v21 op_sel:[0,1] op_sel_hi:[1,0] neg_lo:[0,1] neg_hi:[0,1]
	v_bfi_b32 v16, 0xffff, v16, v17
	v_bfi_b32 v5, 0xffff, v18, v5
	ds_write_b32 v15, v16
	ds_write_b32 v19, v5 offset:1512
	ds_read_b32 v5, v13
	ds_read_b32 v15, v19 offset:1404
	s_waitcnt lgkmcnt(0)
	v_pk_add_f16 v16, v5, v15 neg_lo:[0,1] neg_hi:[0,1]
	v_pk_add_f16 v5, v5, v15
	v_bfi_b32 v15, 0xffff, v16, v5
	v_bfi_b32 v5, 0xffff, v5, v16
	v_pk_mul_f16 v15, v15, 0.5 op_sel_hi:[1,0]
	v_pk_mul_f16 v5, v5, 0.5 op_sel_hi:[1,0]
	s_waitcnt vmcnt(4)
	v_pk_mul_f16 v17, v14, v15 op_sel_hi:[0,1]
	v_pk_fma_f16 v16, v14, v15, v5 op_sel:[1,0,0]
	v_pk_fma_f16 v18, v14, v15, v5 op_sel:[1,0,0] neg_lo:[1,0,0] neg_hi:[1,0,0]
	v_pk_fma_f16 v5, v14, v15, v5 op_sel:[1,0,0] neg_lo:[0,0,1] neg_hi:[0,0,1]
	v_pk_add_f16 v14, v16, v17 op_sel:[0,1] op_sel_hi:[1,0]
	v_pk_add_f16 v15, v16, v17 op_sel:[0,1] op_sel_hi:[1,0] neg_lo:[0,1] neg_hi:[0,1]
	v_pk_add_f16 v16, v18, v17 op_sel:[0,1] op_sel_hi:[1,0] neg_lo:[0,1] neg_hi:[0,1]
	v_pk_add_f16 v5, v5, v17 op_sel:[0,1] op_sel_hi:[1,0] neg_lo:[0,1] neg_hi:[0,1]
	v_bfi_b32 v14, 0xffff, v14, v15
	v_bfi_b32 v5, 0xffff, v16, v5
	ds_write_b32 v13, v14
	ds_write_b32 v19, v5 offset:1404
	ds_read_b32 v5, v11
	ds_read_b32 v13, v19 offset:1296
	s_waitcnt lgkmcnt(0)
	v_pk_add_f16 v14, v5, v13 neg_lo:[0,1] neg_hi:[0,1]
	v_pk_add_f16 v5, v5, v13
	v_bfi_b32 v13, 0xffff, v14, v5
	v_bfi_b32 v5, 0xffff, v5, v14
	v_pk_mul_f16 v13, v13, 0.5 op_sel_hi:[1,0]
	v_pk_mul_f16 v5, v5, 0.5 op_sel_hi:[1,0]
	s_waitcnt vmcnt(3)
	v_pk_mul_f16 v15, v12, v13 op_sel_hi:[0,1]
	v_pk_fma_f16 v14, v12, v13, v5 op_sel:[1,0,0]
	v_pk_fma_f16 v16, v12, v13, v5 op_sel:[1,0,0] neg_lo:[1,0,0] neg_hi:[1,0,0]
	v_pk_fma_f16 v5, v12, v13, v5 op_sel:[1,0,0] neg_lo:[0,0,1] neg_hi:[0,0,1]
	v_pk_add_f16 v12, v14, v15 op_sel:[0,1] op_sel_hi:[1,0]
	v_pk_add_f16 v13, v14, v15 op_sel:[0,1] op_sel_hi:[1,0] neg_lo:[0,1] neg_hi:[0,1]
	v_pk_add_f16 v14, v16, v15 op_sel:[0,1] op_sel_hi:[1,0] neg_lo:[0,1] neg_hi:[0,1]
	v_pk_add_f16 v5, v5, v15 op_sel:[0,1] op_sel_hi:[1,0] neg_lo:[0,1] neg_hi:[0,1]
	v_bfi_b32 v12, 0xffff, v12, v13
	v_bfi_b32 v5, 0xffff, v14, v5
	ds_write_b32 v11, v12
	ds_write_b32 v19, v5 offset:1296
	ds_read_b32 v5, v9
	ds_read_b32 v11, v19 offset:1188
	s_waitcnt lgkmcnt(0)
	v_pk_add_f16 v12, v5, v11 neg_lo:[0,1] neg_hi:[0,1]
	v_pk_add_f16 v5, v5, v11
	v_bfi_b32 v11, 0xffff, v12, v5
	v_bfi_b32 v5, 0xffff, v5, v12
	v_pk_mul_f16 v11, v11, 0.5 op_sel_hi:[1,0]
	v_pk_mul_f16 v5, v5, 0.5 op_sel_hi:[1,0]
	s_waitcnt vmcnt(2)
	v_pk_mul_f16 v13, v10, v11 op_sel_hi:[0,1]
	v_pk_fma_f16 v12, v10, v11, v5 op_sel:[1,0,0]
	v_pk_fma_f16 v14, v10, v11, v5 op_sel:[1,0,0] neg_lo:[1,0,0] neg_hi:[1,0,0]
	v_pk_fma_f16 v5, v10, v11, v5 op_sel:[1,0,0] neg_lo:[0,0,1] neg_hi:[0,0,1]
	v_pk_add_f16 v10, v12, v13 op_sel:[0,1] op_sel_hi:[1,0]
	v_pk_add_f16 v11, v12, v13 op_sel:[0,1] op_sel_hi:[1,0] neg_lo:[0,1] neg_hi:[0,1]
	v_pk_add_f16 v12, v14, v13 op_sel:[0,1] op_sel_hi:[1,0] neg_lo:[0,1] neg_hi:[0,1]
	;; [unrolled: 1-line block ×3, first 2 shown]
	v_bfi_b32 v10, 0xffff, v10, v11
	v_bfi_b32 v5, 0xffff, v12, v5
	ds_write_b32 v9, v10
	ds_write_b32 v19, v5 offset:1188
	ds_read_b32 v5, v32 offset:648
	ds_read_b32 v9, v19 offset:1080
	s_waitcnt lgkmcnt(0)
	v_pk_add_f16 v10, v5, v9 neg_lo:[0,1] neg_hi:[0,1]
	v_pk_add_f16 v5, v5, v9
	v_bfi_b32 v9, 0xffff, v10, v5
	v_bfi_b32 v5, 0xffff, v5, v10
	v_pk_mul_f16 v9, v9, 0.5 op_sel_hi:[1,0]
	v_pk_mul_f16 v5, v5, 0.5 op_sel_hi:[1,0]
	s_waitcnt vmcnt(1)
	v_pk_mul_f16 v11, v20, v9 op_sel_hi:[0,1]
	v_pk_fma_f16 v10, v20, v9, v5 op_sel:[1,0,0]
	v_pk_fma_f16 v12, v20, v9, v5 op_sel:[1,0,0] neg_lo:[1,0,0] neg_hi:[1,0,0]
	v_pk_fma_f16 v5, v20, v9, v5 op_sel:[1,0,0] neg_lo:[0,0,1] neg_hi:[0,0,1]
	v_pk_add_f16 v9, v10, v11 op_sel:[0,1] op_sel_hi:[1,0]
	v_pk_add_f16 v10, v10, v11 op_sel:[0,1] op_sel_hi:[1,0] neg_lo:[0,1] neg_hi:[0,1]
	v_pk_add_f16 v12, v12, v11 op_sel:[0,1] op_sel_hi:[1,0] neg_lo:[0,1] neg_hi:[0,1]
	;; [unrolled: 1-line block ×3, first 2 shown]
	v_bfi_b32 v9, 0xffff, v9, v10
	v_bfi_b32 v5, 0xffff, v12, v5
	ds_write_b32 v32, v9 offset:648
	ds_write_b32 v19, v5 offset:1080
	ds_read_b32 v5, v32 offset:756
	ds_read_b32 v9, v19 offset:972
	s_waitcnt lgkmcnt(0)
	v_pk_add_f16 v10, v5, v9 neg_lo:[0,1] neg_hi:[0,1]
	v_pk_add_f16 v5, v5, v9
	v_bfi_b32 v9, 0xffff, v10, v5
	v_bfi_b32 v5, 0xffff, v5, v10
	v_pk_mul_f16 v9, v9, 0.5 op_sel_hi:[1,0]
	v_pk_mul_f16 v5, v5, 0.5 op_sel_hi:[1,0]
	s_waitcnt vmcnt(0)
	v_pk_mul_f16 v11, v4, v9 op_sel_hi:[0,1]
	v_pk_fma_f16 v10, v4, v9, v5 op_sel:[1,0,0]
	v_pk_fma_f16 v12, v4, v9, v5 op_sel:[1,0,0] neg_lo:[1,0,0] neg_hi:[1,0,0]
	v_pk_fma_f16 v4, v4, v9, v5 op_sel:[1,0,0] neg_lo:[0,0,1] neg_hi:[0,0,1]
	v_pk_add_f16 v5, v10, v11 op_sel:[0,1] op_sel_hi:[1,0]
	v_pk_add_f16 v9, v10, v11 op_sel:[0,1] op_sel_hi:[1,0] neg_lo:[0,1] neg_hi:[0,1]
	v_pk_add_f16 v10, v12, v11 op_sel:[0,1] op_sel_hi:[1,0] neg_lo:[0,1] neg_hi:[0,1]
	;; [unrolled: 1-line block ×3, first 2 shown]
	v_bfi_b32 v5, 0xffff, v5, v9
	v_bfi_b32 v4, 0xffff, v10, v4
	ds_write_b32 v32, v5 offset:756
	ds_write_b32 v19, v4 offset:972
	s_waitcnt lgkmcnt(0)
	s_barrier
	buffer_gl0_inv
	s_and_saveexec_b32 s0, vcc_lo
	s_cbranch_execz .LBB0_30
; %bb.28:
	v_mul_lo_u32 v4, s3, v7
	v_mul_lo_u32 v5, s2, v8
	v_mad_u64_u32 v[8:9], null, s2, v7, 0
	v_lshl_add_u32 v7, v3, 2, v0
	v_lshlrev_b64 v[0:1], 2, v[1:2]
	ds_read2_b32 v[10:11], v7 offset1:27
	v_add3_u32 v9, v9, v5, v4
	v_mov_b32_e32 v4, v6
	v_add_nc_u32_e32 v5, 27, v3
	v_lshlrev_b64 v[8:9], 2, v[8:9]
	v_lshlrev_b64 v[12:13], 2, v[3:4]
	;; [unrolled: 1-line block ×3, first 2 shown]
	v_add_nc_u32_e32 v5, 54, v3
	v_add_co_u32 v2, vcc_lo, s10, v8
	v_add_co_ci_u32_e32 v4, vcc_lo, s11, v9, vcc_lo
	ds_read2_b32 v[8:9], v7 offset0:54 offset1:81
	v_add_co_u32 v0, vcc_lo, v2, v0
	v_add_co_ci_u32_e32 v1, vcc_lo, v4, v1, vcc_lo
	v_lshlrev_b64 v[16:17], 2, v[5:6]
	v_add_co_u32 v12, vcc_lo, v0, v12
	v_add_co_ci_u32_e32 v13, vcc_lo, v1, v13, vcc_lo
	v_add_co_u32 v14, vcc_lo, v0, v14
	v_add_co_ci_u32_e32 v15, vcc_lo, v1, v15, vcc_lo
	v_add_nc_u32_e32 v5, 0x51, v3
	v_add_co_u32 v16, vcc_lo, v0, v16
	v_add_co_ci_u32_e32 v17, vcc_lo, v1, v17, vcc_lo
	v_lshlrev_b64 v[18:19], 2, v[5:6]
	v_add_nc_u32_e32 v5, 0x6c, v3
	s_waitcnt lgkmcnt(1)
	global_store_dword v[12:13], v10, off
	global_store_dword v[14:15], v11, off
	s_waitcnt lgkmcnt(0)
	global_store_dword v[16:17], v8, off
	ds_read2_b32 v[10:11], v7 offset0:108 offset1:135
	v_add_nc_u32_e32 v2, 0x400, v7
	v_lshlrev_b64 v[12:13], 2, v[5:6]
	v_add_nc_u32_e32 v5, 0x87, v3
	v_add_co_u32 v14, vcc_lo, v0, v18
	v_add_co_ci_u32_e32 v15, vcc_lo, v1, v19, vcc_lo
	v_lshlrev_b64 v[16:17], 2, v[5:6]
	v_add_co_u32 v12, vcc_lo, v0, v12
	v_add_co_ci_u32_e32 v13, vcc_lo, v1, v13, vcc_lo
	v_add_nc_u32_e32 v5, 0xa2, v3
	v_add_co_u32 v16, vcc_lo, v0, v16
	v_add_co_ci_u32_e32 v17, vcc_lo, v1, v17, vcc_lo
	v_lshlrev_b64 v[18:19], 2, v[5:6]
	v_add_nc_u32_e32 v5, 0xbd, v3
	global_store_dword v[14:15], v9, off
	s_waitcnt lgkmcnt(0)
	global_store_dword v[12:13], v10, off
	global_store_dword v[16:17], v11, off
	ds_read2_b32 v[8:9], v7 offset0:162 offset1:189
	ds_read2_b32 v[12:13], v7 offset0:216 offset1:243
	v_lshlrev_b64 v[10:11], 2, v[5:6]
	v_add_nc_u32_e32 v5, 0xd8, v3
	v_add_co_u32 v14, vcc_lo, v0, v18
	v_add_co_ci_u32_e32 v15, vcc_lo, v1, v19, vcc_lo
	v_lshlrev_b64 v[16:17], 2, v[5:6]
	v_add_co_u32 v10, vcc_lo, v0, v10
	v_add_co_ci_u32_e32 v11, vcc_lo, v1, v11, vcc_lo
	v_add_nc_u32_e32 v5, 0xf3, v3
	v_add_co_u32 v16, vcc_lo, v0, v16
	v_add_co_ci_u32_e32 v17, vcc_lo, v1, v17, vcc_lo
	v_lshlrev_b64 v[18:19], 2, v[5:6]
	v_add_nc_u32_e32 v5, 0x10e, v3
	s_waitcnt lgkmcnt(1)
	global_store_dword v[14:15], v8, off
	global_store_dword v[10:11], v9, off
	s_waitcnt lgkmcnt(0)
	global_store_dword v[16:17], v12, off
	ds_read2_b32 v[8:9], v2 offset0:14 offset1:41
	v_lshlrev_b64 v[10:11], 2, v[5:6]
	v_add_nc_u32_e32 v5, 0x129, v3
	v_add_co_u32 v14, vcc_lo, v0, v18
	v_add_co_ci_u32_e32 v15, vcc_lo, v1, v19, vcc_lo
	v_lshlrev_b64 v[16:17], 2, v[5:6]
	v_add_nc_u32_e32 v5, 0x144, v3
	v_add_co_u32 v10, vcc_lo, v0, v10
	v_add_co_ci_u32_e32 v11, vcc_lo, v1, v11, vcc_lo
	v_add_co_u32 v16, vcc_lo, v0, v16
	v_lshlrev_b64 v[18:19], 2, v[5:6]
	v_add_nc_u32_e32 v5, 0x15f, v3
	v_add_co_ci_u32_e32 v17, vcc_lo, v1, v17, vcc_lo
	global_store_dword v[14:15], v13, off
	s_waitcnt lgkmcnt(0)
	global_store_dword v[10:11], v8, off
	global_store_dword v[16:17], v9, off
	v_lshlrev_b64 v[10:11], 2, v[5:6]
	v_add_nc_u32_e32 v5, 0x17a, v3
	ds_read2_b32 v[8:9], v2 offset0:68 offset1:95
	ds_read2_b32 v[12:13], v2 offset0:122 offset1:149
	v_add_co_u32 v14, vcc_lo, v0, v18
	v_lshlrev_b64 v[16:17], 2, v[5:6]
	v_add_nc_u32_e32 v5, 0x195, v3
	v_add_co_ci_u32_e32 v15, vcc_lo, v1, v19, vcc_lo
	v_add_co_u32 v10, vcc_lo, v0, v10
	v_lshlrev_b64 v[4:5], 2, v[5:6]
	v_add_co_ci_u32_e32 v11, vcc_lo, v1, v11, vcc_lo
	v_add_co_u32 v16, vcc_lo, v0, v16
	v_add_co_ci_u32_e32 v17, vcc_lo, v1, v17, vcc_lo
	v_add_co_u32 v4, vcc_lo, v0, v4
	v_add_co_ci_u32_e32 v5, vcc_lo, v1, v5, vcc_lo
	v_cmp_eq_u32_e32 vcc_lo, 26, v3
	s_waitcnt lgkmcnt(1)
	global_store_dword v[14:15], v8, off
	global_store_dword v[10:11], v9, off
	s_waitcnt lgkmcnt(0)
	global_store_dword v[16:17], v12, off
	global_store_dword v[4:5], v13, off
	s_and_b32 exec_lo, exec_lo, vcc_lo
	s_cbranch_execz .LBB0_30
; %bb.29:
	ds_read_b32 v2, v7 offset:1624
	s_waitcnt lgkmcnt(0)
	global_store_dword v[0:1], v2, off offset:1728
.LBB0_30:
	s_endpgm
	.section	.rodata,"a",@progbits
	.p2align	6, 0x0
	.amdhsa_kernel fft_rtc_back_len432_factors_3_16_3_3_wgs_54_tpt_27_halfLds_half_op_CI_CI_unitstride_sbrr_R2C_dirReg
		.amdhsa_group_segment_fixed_size 0
		.amdhsa_private_segment_fixed_size 0
		.amdhsa_kernarg_size 104
		.amdhsa_user_sgpr_count 6
		.amdhsa_user_sgpr_private_segment_buffer 1
		.amdhsa_user_sgpr_dispatch_ptr 0
		.amdhsa_user_sgpr_queue_ptr 0
		.amdhsa_user_sgpr_kernarg_segment_ptr 1
		.amdhsa_user_sgpr_dispatch_id 0
		.amdhsa_user_sgpr_flat_scratch_init 0
		.amdhsa_user_sgpr_private_segment_size 0
		.amdhsa_wavefront_size32 1
		.amdhsa_uses_dynamic_stack 0
		.amdhsa_system_sgpr_private_segment_wavefront_offset 0
		.amdhsa_system_sgpr_workgroup_id_x 1
		.amdhsa_system_sgpr_workgroup_id_y 0
		.amdhsa_system_sgpr_workgroup_id_z 0
		.amdhsa_system_sgpr_workgroup_info 0
		.amdhsa_system_vgpr_workitem_id 0
		.amdhsa_next_free_vgpr 69
		.amdhsa_next_free_sgpr 27
		.amdhsa_reserve_vcc 1
		.amdhsa_reserve_flat_scratch 0
		.amdhsa_float_round_mode_32 0
		.amdhsa_float_round_mode_16_64 0
		.amdhsa_float_denorm_mode_32 3
		.amdhsa_float_denorm_mode_16_64 3
		.amdhsa_dx10_clamp 1
		.amdhsa_ieee_mode 1
		.amdhsa_fp16_overflow 0
		.amdhsa_workgroup_processor_mode 1
		.amdhsa_memory_ordered 1
		.amdhsa_forward_progress 0
		.amdhsa_shared_vgpr_count 0
		.amdhsa_exception_fp_ieee_invalid_op 0
		.amdhsa_exception_fp_denorm_src 0
		.amdhsa_exception_fp_ieee_div_zero 0
		.amdhsa_exception_fp_ieee_overflow 0
		.amdhsa_exception_fp_ieee_underflow 0
		.amdhsa_exception_fp_ieee_inexact 0
		.amdhsa_exception_int_div_zero 0
	.end_amdhsa_kernel
	.text
.Lfunc_end0:
	.size	fft_rtc_back_len432_factors_3_16_3_3_wgs_54_tpt_27_halfLds_half_op_CI_CI_unitstride_sbrr_R2C_dirReg, .Lfunc_end0-fft_rtc_back_len432_factors_3_16_3_3_wgs_54_tpt_27_halfLds_half_op_CI_CI_unitstride_sbrr_R2C_dirReg
                                        ; -- End function
	.section	.AMDGPU.csdata,"",@progbits
; Kernel info:
; codeLenInByte = 10524
; NumSgprs: 29
; NumVgprs: 69
; ScratchSize: 0
; MemoryBound: 0
; FloatMode: 240
; IeeeMode: 1
; LDSByteSize: 0 bytes/workgroup (compile time only)
; SGPRBlocks: 3
; VGPRBlocks: 8
; NumSGPRsForWavesPerEU: 29
; NumVGPRsForWavesPerEU: 69
; Occupancy: 12
; WaveLimiterHint : 1
; COMPUTE_PGM_RSRC2:SCRATCH_EN: 0
; COMPUTE_PGM_RSRC2:USER_SGPR: 6
; COMPUTE_PGM_RSRC2:TRAP_HANDLER: 0
; COMPUTE_PGM_RSRC2:TGID_X_EN: 1
; COMPUTE_PGM_RSRC2:TGID_Y_EN: 0
; COMPUTE_PGM_RSRC2:TGID_Z_EN: 0
; COMPUTE_PGM_RSRC2:TIDIG_COMP_CNT: 0
	.text
	.p2alignl 6, 3214868480
	.fill 48, 4, 3214868480
	.type	__hip_cuid_419187c5d350678d,@object ; @__hip_cuid_419187c5d350678d
	.section	.bss,"aw",@nobits
	.globl	__hip_cuid_419187c5d350678d
__hip_cuid_419187c5d350678d:
	.byte	0                               ; 0x0
	.size	__hip_cuid_419187c5d350678d, 1

	.ident	"AMD clang version 19.0.0git (https://github.com/RadeonOpenCompute/llvm-project roc-6.4.0 25133 c7fe45cf4b819c5991fe208aaa96edf142730f1d)"
	.section	".note.GNU-stack","",@progbits
	.addrsig
	.addrsig_sym __hip_cuid_419187c5d350678d
	.amdgpu_metadata
---
amdhsa.kernels:
  - .args:
      - .actual_access:  read_only
        .address_space:  global
        .offset:         0
        .size:           8
        .value_kind:     global_buffer
      - .offset:         8
        .size:           8
        .value_kind:     by_value
      - .actual_access:  read_only
        .address_space:  global
        .offset:         16
        .size:           8
        .value_kind:     global_buffer
      - .actual_access:  read_only
        .address_space:  global
        .offset:         24
        .size:           8
        .value_kind:     global_buffer
      - .actual_access:  read_only
        .address_space:  global
        .offset:         32
        .size:           8
        .value_kind:     global_buffer
      - .offset:         40
        .size:           8
        .value_kind:     by_value
      - .actual_access:  read_only
        .address_space:  global
        .offset:         48
        .size:           8
        .value_kind:     global_buffer
      - .actual_access:  read_only
        .address_space:  global
        .offset:         56
        .size:           8
        .value_kind:     global_buffer
      - .offset:         64
        .size:           4
        .value_kind:     by_value
      - .actual_access:  read_only
        .address_space:  global
        .offset:         72
        .size:           8
        .value_kind:     global_buffer
      - .actual_access:  read_only
        .address_space:  global
        .offset:         80
        .size:           8
        .value_kind:     global_buffer
      - .actual_access:  read_only
        .address_space:  global
        .offset:         88
        .size:           8
        .value_kind:     global_buffer
      - .actual_access:  write_only
        .address_space:  global
        .offset:         96
        .size:           8
        .value_kind:     global_buffer
    .group_segment_fixed_size: 0
    .kernarg_segment_align: 8
    .kernarg_segment_size: 104
    .language:       OpenCL C
    .language_version:
      - 2
      - 0
    .max_flat_workgroup_size: 54
    .name:           fft_rtc_back_len432_factors_3_16_3_3_wgs_54_tpt_27_halfLds_half_op_CI_CI_unitstride_sbrr_R2C_dirReg
    .private_segment_fixed_size: 0
    .sgpr_count:     29
    .sgpr_spill_count: 0
    .symbol:         fft_rtc_back_len432_factors_3_16_3_3_wgs_54_tpt_27_halfLds_half_op_CI_CI_unitstride_sbrr_R2C_dirReg.kd
    .uniform_work_group_size: 1
    .uses_dynamic_stack: false
    .vgpr_count:     69
    .vgpr_spill_count: 0
    .wavefront_size: 32
    .workgroup_processor_mode: 1
amdhsa.target:   amdgcn-amd-amdhsa--gfx1030
amdhsa.version:
  - 1
  - 2
...

	.end_amdgpu_metadata
